;; amdgpu-corpus repo=ROCm/hipCUB kind=compiled arch=gfx1201 opt=O3
	.amdgcn_target "amdgcn-amd-amdhsa--gfx1201"
	.amdhsa_code_object_version 6
	.section	.text._Z21shuffle_offset_kernelILj32E12hip_bfloat16EvPT0_S2_i,"axG",@progbits,_Z21shuffle_offset_kernelILj32E12hip_bfloat16EvPT0_S2_i,comdat
	.protected	_Z21shuffle_offset_kernelILj32E12hip_bfloat16EvPT0_S2_i ; -- Begin function _Z21shuffle_offset_kernelILj32E12hip_bfloat16EvPT0_S2_i
	.globl	_Z21shuffle_offset_kernelILj32E12hip_bfloat16EvPT0_S2_i
	.p2align	8
	.type	_Z21shuffle_offset_kernelILj32E12hip_bfloat16EvPT0_S2_i,@function
_Z21shuffle_offset_kernelILj32E12hip_bfloat16EvPT0_S2_i: ; @_Z21shuffle_offset_kernelILj32E12hip_bfloat16EvPT0_S2_i
; %bb.0:
	s_load_b128 s[4:7], s[0:1], 0x0
	v_mov_b32_e32 v2, 0
	v_lshl_or_b32 v1, ttmp9, 5, v0
	s_load_b32 s0, s[0:1], 0x10
	s_mov_b32 s1, exec_lo
	s_delay_alu instid0(VALU_DEP_1) | instskip(SKIP_1) | instid1(VALU_DEP_1)
	v_lshlrev_b64_e32 v[1:2], 1, v[1:2]
	s_wait_kmcnt 0x0
	v_add_co_u32 v3, vcc_lo, s4, v1
	s_delay_alu instid0(VALU_DEP_1)
	v_add_co_ci_u32_e64 v4, null, s5, v2, vcc_lo
	global_load_u16 v3, v[3:4], off
	v_add_nc_u32_e32 v4, s0, v0
	v_lshlrev_b32_e32 v0, 1, v0
	s_wait_loadcnt 0x0
	ds_store_b16 v0, v3
	s_wait_dscnt 0x0
	; wave barrier
	global_inv scope:SCOPE_SE
	v_cmpx_gt_u32_e32 32, v4
	s_cbranch_execz .LBB0_2
; %bb.1:
	v_lshl_add_u32 v0, s0, 1, v0
	ds_load_u16 v3, v0
	v_add_co_u32 v0, vcc_lo, s6, v1
	s_wait_alu 0xfffd
	v_add_co_ci_u32_e64 v1, null, s7, v2, vcc_lo
	s_wait_dscnt 0x0
	global_store_b16 v[0:1], v3, off
.LBB0_2:
	s_endpgm
	.section	.rodata,"a",@progbits
	.p2align	6, 0x0
	.amdhsa_kernel _Z21shuffle_offset_kernelILj32E12hip_bfloat16EvPT0_S2_i
		.amdhsa_group_segment_fixed_size 64
		.amdhsa_private_segment_fixed_size 0
		.amdhsa_kernarg_size 20
		.amdhsa_user_sgpr_count 2
		.amdhsa_user_sgpr_dispatch_ptr 0
		.amdhsa_user_sgpr_queue_ptr 0
		.amdhsa_user_sgpr_kernarg_segment_ptr 1
		.amdhsa_user_sgpr_dispatch_id 0
		.amdhsa_user_sgpr_private_segment_size 0
		.amdhsa_wavefront_size32 1
		.amdhsa_uses_dynamic_stack 0
		.amdhsa_enable_private_segment 0
		.amdhsa_system_sgpr_workgroup_id_x 1
		.amdhsa_system_sgpr_workgroup_id_y 0
		.amdhsa_system_sgpr_workgroup_id_z 0
		.amdhsa_system_sgpr_workgroup_info 0
		.amdhsa_system_vgpr_workitem_id 0
		.amdhsa_next_free_vgpr 5
		.amdhsa_next_free_sgpr 8
		.amdhsa_reserve_vcc 1
		.amdhsa_float_round_mode_32 0
		.amdhsa_float_round_mode_16_64 0
		.amdhsa_float_denorm_mode_32 3
		.amdhsa_float_denorm_mode_16_64 3
		.amdhsa_fp16_overflow 0
		.amdhsa_workgroup_processor_mode 1
		.amdhsa_memory_ordered 1
		.amdhsa_forward_progress 1
		.amdhsa_inst_pref_size 2
		.amdhsa_round_robin_scheduling 0
		.amdhsa_exception_fp_ieee_invalid_op 0
		.amdhsa_exception_fp_denorm_src 0
		.amdhsa_exception_fp_ieee_div_zero 0
		.amdhsa_exception_fp_ieee_overflow 0
		.amdhsa_exception_fp_ieee_underflow 0
		.amdhsa_exception_fp_ieee_inexact 0
		.amdhsa_exception_int_div_zero 0
	.end_amdhsa_kernel
	.section	.text._Z21shuffle_offset_kernelILj32E12hip_bfloat16EvPT0_S2_i,"axG",@progbits,_Z21shuffle_offset_kernelILj32E12hip_bfloat16EvPT0_S2_i,comdat
.Lfunc_end0:
	.size	_Z21shuffle_offset_kernelILj32E12hip_bfloat16EvPT0_S2_i, .Lfunc_end0-_Z21shuffle_offset_kernelILj32E12hip_bfloat16EvPT0_S2_i
                                        ; -- End function
	.set _Z21shuffle_offset_kernelILj32E12hip_bfloat16EvPT0_S2_i.num_vgpr, 5
	.set _Z21shuffle_offset_kernelILj32E12hip_bfloat16EvPT0_S2_i.num_agpr, 0
	.set _Z21shuffle_offset_kernelILj32E12hip_bfloat16EvPT0_S2_i.numbered_sgpr, 8
	.set _Z21shuffle_offset_kernelILj32E12hip_bfloat16EvPT0_S2_i.num_named_barrier, 0
	.set _Z21shuffle_offset_kernelILj32E12hip_bfloat16EvPT0_S2_i.private_seg_size, 0
	.set _Z21shuffle_offset_kernelILj32E12hip_bfloat16EvPT0_S2_i.uses_vcc, 1
	.set _Z21shuffle_offset_kernelILj32E12hip_bfloat16EvPT0_S2_i.uses_flat_scratch, 0
	.set _Z21shuffle_offset_kernelILj32E12hip_bfloat16EvPT0_S2_i.has_dyn_sized_stack, 0
	.set _Z21shuffle_offset_kernelILj32E12hip_bfloat16EvPT0_S2_i.has_recursion, 0
	.set _Z21shuffle_offset_kernelILj32E12hip_bfloat16EvPT0_S2_i.has_indirect_call, 0
	.section	.AMDGPU.csdata,"",@progbits
; Kernel info:
; codeLenInByte = 176
; TotalNumSgprs: 10
; NumVgprs: 5
; ScratchSize: 0
; MemoryBound: 0
; FloatMode: 240
; IeeeMode: 1
; LDSByteSize: 64 bytes/workgroup (compile time only)
; SGPRBlocks: 0
; VGPRBlocks: 0
; NumSGPRsForWavesPerEU: 10
; NumVGPRsForWavesPerEU: 5
; Occupancy: 16
; WaveLimiterHint : 0
; COMPUTE_PGM_RSRC2:SCRATCH_EN: 0
; COMPUTE_PGM_RSRC2:USER_SGPR: 2
; COMPUTE_PGM_RSRC2:TRAP_HANDLER: 0
; COMPUTE_PGM_RSRC2:TGID_X_EN: 1
; COMPUTE_PGM_RSRC2:TGID_Y_EN: 0
; COMPUTE_PGM_RSRC2:TGID_Z_EN: 0
; COMPUTE_PGM_RSRC2:TIDIG_COMP_CNT: 0
	.section	.text._Z21shuffle_offset_kernelILj32E6__halfEvPT0_S2_i,"axG",@progbits,_Z21shuffle_offset_kernelILj32E6__halfEvPT0_S2_i,comdat
	.protected	_Z21shuffle_offset_kernelILj32E6__halfEvPT0_S2_i ; -- Begin function _Z21shuffle_offset_kernelILj32E6__halfEvPT0_S2_i
	.globl	_Z21shuffle_offset_kernelILj32E6__halfEvPT0_S2_i
	.p2align	8
	.type	_Z21shuffle_offset_kernelILj32E6__halfEvPT0_S2_i,@function
_Z21shuffle_offset_kernelILj32E6__halfEvPT0_S2_i: ; @_Z21shuffle_offset_kernelILj32E6__halfEvPT0_S2_i
; %bb.0:
	s_load_b128 s[4:7], s[0:1], 0x0
	v_mov_b32_e32 v2, 0
	v_lshl_or_b32 v1, ttmp9, 5, v0
	s_load_b32 s0, s[0:1], 0x10
	s_mov_b32 s1, exec_lo
	s_delay_alu instid0(VALU_DEP_1) | instskip(SKIP_1) | instid1(VALU_DEP_1)
	v_lshlrev_b64_e32 v[1:2], 1, v[1:2]
	s_wait_kmcnt 0x0
	v_add_co_u32 v3, vcc_lo, s4, v1
	s_delay_alu instid0(VALU_DEP_1)
	v_add_co_ci_u32_e64 v4, null, s5, v2, vcc_lo
	global_load_u16 v3, v[3:4], off
	v_add_nc_u32_e32 v4, s0, v0
	v_lshlrev_b32_e32 v0, 1, v0
	s_wait_loadcnt 0x0
	ds_store_b16 v0, v3
	s_wait_dscnt 0x0
	; wave barrier
	global_inv scope:SCOPE_SE
	v_cmpx_gt_u32_e32 32, v4
	s_cbranch_execz .LBB1_2
; %bb.1:
	v_lshl_add_u32 v0, s0, 1, v0
	ds_load_u16 v3, v0
	v_add_co_u32 v0, vcc_lo, s6, v1
	s_wait_alu 0xfffd
	v_add_co_ci_u32_e64 v1, null, s7, v2, vcc_lo
	s_wait_dscnt 0x0
	global_store_b16 v[0:1], v3, off
.LBB1_2:
	s_endpgm
	.section	.rodata,"a",@progbits
	.p2align	6, 0x0
	.amdhsa_kernel _Z21shuffle_offset_kernelILj32E6__halfEvPT0_S2_i
		.amdhsa_group_segment_fixed_size 64
		.amdhsa_private_segment_fixed_size 0
		.amdhsa_kernarg_size 20
		.amdhsa_user_sgpr_count 2
		.amdhsa_user_sgpr_dispatch_ptr 0
		.amdhsa_user_sgpr_queue_ptr 0
		.amdhsa_user_sgpr_kernarg_segment_ptr 1
		.amdhsa_user_sgpr_dispatch_id 0
		.amdhsa_user_sgpr_private_segment_size 0
		.amdhsa_wavefront_size32 1
		.amdhsa_uses_dynamic_stack 0
		.amdhsa_enable_private_segment 0
		.amdhsa_system_sgpr_workgroup_id_x 1
		.amdhsa_system_sgpr_workgroup_id_y 0
		.amdhsa_system_sgpr_workgroup_id_z 0
		.amdhsa_system_sgpr_workgroup_info 0
		.amdhsa_system_vgpr_workitem_id 0
		.amdhsa_next_free_vgpr 5
		.amdhsa_next_free_sgpr 8
		.amdhsa_reserve_vcc 1
		.amdhsa_float_round_mode_32 0
		.amdhsa_float_round_mode_16_64 0
		.amdhsa_float_denorm_mode_32 3
		.amdhsa_float_denorm_mode_16_64 3
		.amdhsa_fp16_overflow 0
		.amdhsa_workgroup_processor_mode 1
		.amdhsa_memory_ordered 1
		.amdhsa_forward_progress 1
		.amdhsa_inst_pref_size 2
		.amdhsa_round_robin_scheduling 0
		.amdhsa_exception_fp_ieee_invalid_op 0
		.amdhsa_exception_fp_denorm_src 0
		.amdhsa_exception_fp_ieee_div_zero 0
		.amdhsa_exception_fp_ieee_overflow 0
		.amdhsa_exception_fp_ieee_underflow 0
		.amdhsa_exception_fp_ieee_inexact 0
		.amdhsa_exception_int_div_zero 0
	.end_amdhsa_kernel
	.section	.text._Z21shuffle_offset_kernelILj32E6__halfEvPT0_S2_i,"axG",@progbits,_Z21shuffle_offset_kernelILj32E6__halfEvPT0_S2_i,comdat
.Lfunc_end1:
	.size	_Z21shuffle_offset_kernelILj32E6__halfEvPT0_S2_i, .Lfunc_end1-_Z21shuffle_offset_kernelILj32E6__halfEvPT0_S2_i
                                        ; -- End function
	.set _Z21shuffle_offset_kernelILj32E6__halfEvPT0_S2_i.num_vgpr, 5
	.set _Z21shuffle_offset_kernelILj32E6__halfEvPT0_S2_i.num_agpr, 0
	.set _Z21shuffle_offset_kernelILj32E6__halfEvPT0_S2_i.numbered_sgpr, 8
	.set _Z21shuffle_offset_kernelILj32E6__halfEvPT0_S2_i.num_named_barrier, 0
	.set _Z21shuffle_offset_kernelILj32E6__halfEvPT0_S2_i.private_seg_size, 0
	.set _Z21shuffle_offset_kernelILj32E6__halfEvPT0_S2_i.uses_vcc, 1
	.set _Z21shuffle_offset_kernelILj32E6__halfEvPT0_S2_i.uses_flat_scratch, 0
	.set _Z21shuffle_offset_kernelILj32E6__halfEvPT0_S2_i.has_dyn_sized_stack, 0
	.set _Z21shuffle_offset_kernelILj32E6__halfEvPT0_S2_i.has_recursion, 0
	.set _Z21shuffle_offset_kernelILj32E6__halfEvPT0_S2_i.has_indirect_call, 0
	.section	.AMDGPU.csdata,"",@progbits
; Kernel info:
; codeLenInByte = 176
; TotalNumSgprs: 10
; NumVgprs: 5
; ScratchSize: 0
; MemoryBound: 0
; FloatMode: 240
; IeeeMode: 1
; LDSByteSize: 64 bytes/workgroup (compile time only)
; SGPRBlocks: 0
; VGPRBlocks: 0
; NumSGPRsForWavesPerEU: 10
; NumVGPRsForWavesPerEU: 5
; Occupancy: 16
; WaveLimiterHint : 0
; COMPUTE_PGM_RSRC2:SCRATCH_EN: 0
; COMPUTE_PGM_RSRC2:USER_SGPR: 2
; COMPUTE_PGM_RSRC2:TRAP_HANDLER: 0
; COMPUTE_PGM_RSRC2:TGID_X_EN: 1
; COMPUTE_PGM_RSRC2:TGID_Y_EN: 0
; COMPUTE_PGM_RSRC2:TGID_Z_EN: 0
; COMPUTE_PGM_RSRC2:TIDIG_COMP_CNT: 0
	.section	.text._Z21shuffle_offset_kernelILj32EfEvPT0_S1_i,"axG",@progbits,_Z21shuffle_offset_kernelILj32EfEvPT0_S1_i,comdat
	.protected	_Z21shuffle_offset_kernelILj32EfEvPT0_S1_i ; -- Begin function _Z21shuffle_offset_kernelILj32EfEvPT0_S1_i
	.globl	_Z21shuffle_offset_kernelILj32EfEvPT0_S1_i
	.p2align	8
	.type	_Z21shuffle_offset_kernelILj32EfEvPT0_S1_i,@function
_Z21shuffle_offset_kernelILj32EfEvPT0_S1_i: ; @_Z21shuffle_offset_kernelILj32EfEvPT0_S1_i
; %bb.0:
	s_load_b128 s[4:7], s[0:1], 0x0
	v_mov_b32_e32 v2, 0
	v_lshl_or_b32 v1, ttmp9, 5, v0
	s_load_b32 s0, s[0:1], 0x10
	s_mov_b32 s1, exec_lo
	s_delay_alu instid0(VALU_DEP_1) | instskip(SKIP_1) | instid1(VALU_DEP_1)
	v_lshlrev_b64_e32 v[1:2], 2, v[1:2]
	s_wait_kmcnt 0x0
	v_add_co_u32 v3, vcc_lo, s4, v1
	s_delay_alu instid0(VALU_DEP_1)
	v_add_co_ci_u32_e64 v4, null, s5, v2, vcc_lo
	global_load_b32 v3, v[3:4], off
	v_add_nc_u32_e32 v4, s0, v0
	v_lshlrev_b32_e32 v0, 2, v0
	s_wait_loadcnt 0x0
	ds_store_b32 v0, v3
	s_wait_dscnt 0x0
	; wave barrier
	global_inv scope:SCOPE_SE
	v_cmpx_gt_u32_e32 32, v4
	s_cbranch_execz .LBB2_2
; %bb.1:
	v_lshl_add_u32 v0, s0, 2, v0
	ds_load_b32 v3, v0
	v_add_co_u32 v0, vcc_lo, s6, v1
	s_wait_alu 0xfffd
	v_add_co_ci_u32_e64 v1, null, s7, v2, vcc_lo
	s_wait_dscnt 0x0
	global_store_b32 v[0:1], v3, off
.LBB2_2:
	s_endpgm
	.section	.rodata,"a",@progbits
	.p2align	6, 0x0
	.amdhsa_kernel _Z21shuffle_offset_kernelILj32EfEvPT0_S1_i
		.amdhsa_group_segment_fixed_size 128
		.amdhsa_private_segment_fixed_size 0
		.amdhsa_kernarg_size 20
		.amdhsa_user_sgpr_count 2
		.amdhsa_user_sgpr_dispatch_ptr 0
		.amdhsa_user_sgpr_queue_ptr 0
		.amdhsa_user_sgpr_kernarg_segment_ptr 1
		.amdhsa_user_sgpr_dispatch_id 0
		.amdhsa_user_sgpr_private_segment_size 0
		.amdhsa_wavefront_size32 1
		.amdhsa_uses_dynamic_stack 0
		.amdhsa_enable_private_segment 0
		.amdhsa_system_sgpr_workgroup_id_x 1
		.amdhsa_system_sgpr_workgroup_id_y 0
		.amdhsa_system_sgpr_workgroup_id_z 0
		.amdhsa_system_sgpr_workgroup_info 0
		.amdhsa_system_vgpr_workitem_id 0
		.amdhsa_next_free_vgpr 5
		.amdhsa_next_free_sgpr 8
		.amdhsa_reserve_vcc 1
		.amdhsa_float_round_mode_32 0
		.amdhsa_float_round_mode_16_64 0
		.amdhsa_float_denorm_mode_32 3
		.amdhsa_float_denorm_mode_16_64 3
		.amdhsa_fp16_overflow 0
		.amdhsa_workgroup_processor_mode 1
		.amdhsa_memory_ordered 1
		.amdhsa_forward_progress 1
		.amdhsa_inst_pref_size 2
		.amdhsa_round_robin_scheduling 0
		.amdhsa_exception_fp_ieee_invalid_op 0
		.amdhsa_exception_fp_denorm_src 0
		.amdhsa_exception_fp_ieee_div_zero 0
		.amdhsa_exception_fp_ieee_overflow 0
		.amdhsa_exception_fp_ieee_underflow 0
		.amdhsa_exception_fp_ieee_inexact 0
		.amdhsa_exception_int_div_zero 0
	.end_amdhsa_kernel
	.section	.text._Z21shuffle_offset_kernelILj32EfEvPT0_S1_i,"axG",@progbits,_Z21shuffle_offset_kernelILj32EfEvPT0_S1_i,comdat
.Lfunc_end2:
	.size	_Z21shuffle_offset_kernelILj32EfEvPT0_S1_i, .Lfunc_end2-_Z21shuffle_offset_kernelILj32EfEvPT0_S1_i
                                        ; -- End function
	.set _Z21shuffle_offset_kernelILj32EfEvPT0_S1_i.num_vgpr, 5
	.set _Z21shuffle_offset_kernelILj32EfEvPT0_S1_i.num_agpr, 0
	.set _Z21shuffle_offset_kernelILj32EfEvPT0_S1_i.numbered_sgpr, 8
	.set _Z21shuffle_offset_kernelILj32EfEvPT0_S1_i.num_named_barrier, 0
	.set _Z21shuffle_offset_kernelILj32EfEvPT0_S1_i.private_seg_size, 0
	.set _Z21shuffle_offset_kernelILj32EfEvPT0_S1_i.uses_vcc, 1
	.set _Z21shuffle_offset_kernelILj32EfEvPT0_S1_i.uses_flat_scratch, 0
	.set _Z21shuffle_offset_kernelILj32EfEvPT0_S1_i.has_dyn_sized_stack, 0
	.set _Z21shuffle_offset_kernelILj32EfEvPT0_S1_i.has_recursion, 0
	.set _Z21shuffle_offset_kernelILj32EfEvPT0_S1_i.has_indirect_call, 0
	.section	.AMDGPU.csdata,"",@progbits
; Kernel info:
; codeLenInByte = 176
; TotalNumSgprs: 10
; NumVgprs: 5
; ScratchSize: 0
; MemoryBound: 0
; FloatMode: 240
; IeeeMode: 1
; LDSByteSize: 128 bytes/workgroup (compile time only)
; SGPRBlocks: 0
; VGPRBlocks: 0
; NumSGPRsForWavesPerEU: 10
; NumVGPRsForWavesPerEU: 5
; Occupancy: 16
; WaveLimiterHint : 0
; COMPUTE_PGM_RSRC2:SCRATCH_EN: 0
; COMPUTE_PGM_RSRC2:USER_SGPR: 2
; COMPUTE_PGM_RSRC2:TRAP_HANDLER: 0
; COMPUTE_PGM_RSRC2:TGID_X_EN: 1
; COMPUTE_PGM_RSRC2:TGID_Y_EN: 0
; COMPUTE_PGM_RSRC2:TGID_Z_EN: 0
; COMPUTE_PGM_RSRC2:TIDIG_COMP_CNT: 0
	.section	.text._Z21shuffle_offset_kernelILj377ElEvPT0_S1_i,"axG",@progbits,_Z21shuffle_offset_kernelILj377ElEvPT0_S1_i,comdat
	.protected	_Z21shuffle_offset_kernelILj377ElEvPT0_S1_i ; -- Begin function _Z21shuffle_offset_kernelILj377ElEvPT0_S1_i
	.globl	_Z21shuffle_offset_kernelILj377ElEvPT0_S1_i
	.p2align	8
	.type	_Z21shuffle_offset_kernelILj377ElEvPT0_S1_i,@function
_Z21shuffle_offset_kernelILj377ElEvPT0_S1_i: ; @_Z21shuffle_offset_kernelILj377ElEvPT0_S1_i
; %bb.0:
	s_clause 0x1
	s_load_b128 s[4:7], s[0:1], 0x0
	s_load_b32 s0, s[0:1], 0x10
	v_mad_co_u64_u32 v[1:2], null, 0x179, ttmp9, v[0:1]
	v_mov_b32_e32 v2, 0
	s_mov_b32 s1, exec_lo
	s_wait_kmcnt 0x0
	v_add_nc_u32_e32 v5, s0, v0
	s_delay_alu instid0(VALU_DEP_2) | instskip(SKIP_1) | instid1(VALU_DEP_2)
	v_lshlrev_b64_e32 v[1:2], 3, v[1:2]
	v_lshlrev_b32_e32 v0, 3, v0
	v_add_co_u32 v3, vcc_lo, s4, v1
	s_delay_alu instid0(VALU_DEP_1)
	v_add_co_ci_u32_e64 v4, null, s5, v2, vcc_lo
	global_load_b64 v[3:4], v[3:4], off
	s_wait_loadcnt 0x0
	ds_store_b64 v0, v[3:4]
	s_wait_dscnt 0x0
	s_barrier_signal -1
	s_barrier_wait -1
	global_inv scope:SCOPE_SE
	v_cmpx_gt_u32_e32 0x179, v5
	s_cbranch_execz .LBB3_2
; %bb.1:
	v_lshl_add_u32 v0, s0, 3, v0
	ds_load_b64 v[3:4], v0
	v_add_co_u32 v0, vcc_lo, s6, v1
	s_wait_alu 0xfffd
	v_add_co_ci_u32_e64 v1, null, s7, v2, vcc_lo
	s_wait_dscnt 0x0
	global_store_b64 v[0:1], v[3:4], off
.LBB3_2:
	s_endpgm
	.section	.rodata,"a",@progbits
	.p2align	6, 0x0
	.amdhsa_kernel _Z21shuffle_offset_kernelILj377ElEvPT0_S1_i
		.amdhsa_group_segment_fixed_size 3016
		.amdhsa_private_segment_fixed_size 0
		.amdhsa_kernarg_size 20
		.amdhsa_user_sgpr_count 2
		.amdhsa_user_sgpr_dispatch_ptr 0
		.amdhsa_user_sgpr_queue_ptr 0
		.amdhsa_user_sgpr_kernarg_segment_ptr 1
		.amdhsa_user_sgpr_dispatch_id 0
		.amdhsa_user_sgpr_private_segment_size 0
		.amdhsa_wavefront_size32 1
		.amdhsa_uses_dynamic_stack 0
		.amdhsa_enable_private_segment 0
		.amdhsa_system_sgpr_workgroup_id_x 1
		.amdhsa_system_sgpr_workgroup_id_y 0
		.amdhsa_system_sgpr_workgroup_id_z 0
		.amdhsa_system_sgpr_workgroup_info 0
		.amdhsa_system_vgpr_workitem_id 0
		.amdhsa_next_free_vgpr 6
		.amdhsa_next_free_sgpr 8
		.amdhsa_reserve_vcc 1
		.amdhsa_float_round_mode_32 0
		.amdhsa_float_round_mode_16_64 0
		.amdhsa_float_denorm_mode_32 3
		.amdhsa_float_denorm_mode_16_64 3
		.amdhsa_fp16_overflow 0
		.amdhsa_workgroup_processor_mode 1
		.amdhsa_memory_ordered 1
		.amdhsa_forward_progress 1
		.amdhsa_inst_pref_size 2
		.amdhsa_round_robin_scheduling 0
		.amdhsa_exception_fp_ieee_invalid_op 0
		.amdhsa_exception_fp_denorm_src 0
		.amdhsa_exception_fp_ieee_div_zero 0
		.amdhsa_exception_fp_ieee_overflow 0
		.amdhsa_exception_fp_ieee_underflow 0
		.amdhsa_exception_fp_ieee_inexact 0
		.amdhsa_exception_int_div_zero 0
	.end_amdhsa_kernel
	.section	.text._Z21shuffle_offset_kernelILj377ElEvPT0_S1_i,"axG",@progbits,_Z21shuffle_offset_kernelILj377ElEvPT0_S1_i,comdat
.Lfunc_end3:
	.size	_Z21shuffle_offset_kernelILj377ElEvPT0_S1_i, .Lfunc_end3-_Z21shuffle_offset_kernelILj377ElEvPT0_S1_i
                                        ; -- End function
	.set _Z21shuffle_offset_kernelILj377ElEvPT0_S1_i.num_vgpr, 6
	.set _Z21shuffle_offset_kernelILj377ElEvPT0_S1_i.num_agpr, 0
	.set _Z21shuffle_offset_kernelILj377ElEvPT0_S1_i.numbered_sgpr, 8
	.set _Z21shuffle_offset_kernelILj377ElEvPT0_S1_i.num_named_barrier, 0
	.set _Z21shuffle_offset_kernelILj377ElEvPT0_S1_i.private_seg_size, 0
	.set _Z21shuffle_offset_kernelILj377ElEvPT0_S1_i.uses_vcc, 1
	.set _Z21shuffle_offset_kernelILj377ElEvPT0_S1_i.uses_flat_scratch, 0
	.set _Z21shuffle_offset_kernelILj377ElEvPT0_S1_i.has_dyn_sized_stack, 0
	.set _Z21shuffle_offset_kernelILj377ElEvPT0_S1_i.has_recursion, 0
	.set _Z21shuffle_offset_kernelILj377ElEvPT0_S1_i.has_indirect_call, 0
	.section	.AMDGPU.csdata,"",@progbits
; Kernel info:
; codeLenInByte = 196
; TotalNumSgprs: 10
; NumVgprs: 6
; ScratchSize: 0
; MemoryBound: 0
; FloatMode: 240
; IeeeMode: 1
; LDSByteSize: 3016 bytes/workgroup (compile time only)
; SGPRBlocks: 0
; VGPRBlocks: 0
; NumSGPRsForWavesPerEU: 10
; NumVGPRsForWavesPerEU: 6
; Occupancy: 15
; WaveLimiterHint : 0
; COMPUTE_PGM_RSRC2:SCRATCH_EN: 0
; COMPUTE_PGM_RSRC2:USER_SGPR: 2
; COMPUTE_PGM_RSRC2:TRAP_HANDLER: 0
; COMPUTE_PGM_RSRC2:TGID_X_EN: 1
; COMPUTE_PGM_RSRC2:TGID_Y_EN: 0
; COMPUTE_PGM_RSRC2:TGID_Z_EN: 0
; COMPUTE_PGM_RSRC2:TIDIG_COMP_CNT: 0
	.section	.text._Z21shuffle_offset_kernelILj256ElEvPT0_S1_i,"axG",@progbits,_Z21shuffle_offset_kernelILj256ElEvPT0_S1_i,comdat
	.protected	_Z21shuffle_offset_kernelILj256ElEvPT0_S1_i ; -- Begin function _Z21shuffle_offset_kernelILj256ElEvPT0_S1_i
	.globl	_Z21shuffle_offset_kernelILj256ElEvPT0_S1_i
	.p2align	8
	.type	_Z21shuffle_offset_kernelILj256ElEvPT0_S1_i,@function
_Z21shuffle_offset_kernelILj256ElEvPT0_S1_i: ; @_Z21shuffle_offset_kernelILj256ElEvPT0_S1_i
; %bb.0:
	s_clause 0x1
	s_load_b128 s[4:7], s[0:1], 0x0
	s_load_b32 s0, s[0:1], 0x10
	v_mov_b32_e32 v2, 0
	v_lshl_or_b32 v1, ttmp9, 8, v0
	s_mov_b32 s1, exec_lo
	s_wait_kmcnt 0x0
	v_add_nc_u32_e32 v5, s0, v0
	s_delay_alu instid0(VALU_DEP_2) | instskip(SKIP_1) | instid1(VALU_DEP_2)
	v_lshlrev_b64_e32 v[1:2], 3, v[1:2]
	v_lshlrev_b32_e32 v0, 3, v0
	v_add_co_u32 v3, vcc_lo, s4, v1
	s_delay_alu instid0(VALU_DEP_1)
	v_add_co_ci_u32_e64 v4, null, s5, v2, vcc_lo
	global_load_b64 v[3:4], v[3:4], off
	s_wait_loadcnt 0x0
	ds_store_b64 v0, v[3:4]
	s_wait_dscnt 0x0
	s_barrier_signal -1
	s_barrier_wait -1
	global_inv scope:SCOPE_SE
	v_cmpx_gt_u32_e32 0x100, v5
	s_cbranch_execz .LBB4_2
; %bb.1:
	v_lshl_add_u32 v0, s0, 3, v0
	ds_load_b64 v[3:4], v0
	v_add_co_u32 v0, vcc_lo, s6, v1
	s_wait_alu 0xfffd
	v_add_co_ci_u32_e64 v1, null, s7, v2, vcc_lo
	s_wait_dscnt 0x0
	global_store_b64 v[0:1], v[3:4], off
.LBB4_2:
	s_endpgm
	.section	.rodata,"a",@progbits
	.p2align	6, 0x0
	.amdhsa_kernel _Z21shuffle_offset_kernelILj256ElEvPT0_S1_i
		.amdhsa_group_segment_fixed_size 2048
		.amdhsa_private_segment_fixed_size 0
		.amdhsa_kernarg_size 20
		.amdhsa_user_sgpr_count 2
		.amdhsa_user_sgpr_dispatch_ptr 0
		.amdhsa_user_sgpr_queue_ptr 0
		.amdhsa_user_sgpr_kernarg_segment_ptr 1
		.amdhsa_user_sgpr_dispatch_id 0
		.amdhsa_user_sgpr_private_segment_size 0
		.amdhsa_wavefront_size32 1
		.amdhsa_uses_dynamic_stack 0
		.amdhsa_enable_private_segment 0
		.amdhsa_system_sgpr_workgroup_id_x 1
		.amdhsa_system_sgpr_workgroup_id_y 0
		.amdhsa_system_sgpr_workgroup_id_z 0
		.amdhsa_system_sgpr_workgroup_info 0
		.amdhsa_system_vgpr_workitem_id 0
		.amdhsa_next_free_vgpr 6
		.amdhsa_next_free_sgpr 8
		.amdhsa_reserve_vcc 1
		.amdhsa_float_round_mode_32 0
		.amdhsa_float_round_mode_16_64 0
		.amdhsa_float_denorm_mode_32 3
		.amdhsa_float_denorm_mode_16_64 3
		.amdhsa_fp16_overflow 0
		.amdhsa_workgroup_processor_mode 1
		.amdhsa_memory_ordered 1
		.amdhsa_forward_progress 1
		.amdhsa_inst_pref_size 2
		.amdhsa_round_robin_scheduling 0
		.amdhsa_exception_fp_ieee_invalid_op 0
		.amdhsa_exception_fp_denorm_src 0
		.amdhsa_exception_fp_ieee_div_zero 0
		.amdhsa_exception_fp_ieee_overflow 0
		.amdhsa_exception_fp_ieee_underflow 0
		.amdhsa_exception_fp_ieee_inexact 0
		.amdhsa_exception_int_div_zero 0
	.end_amdhsa_kernel
	.section	.text._Z21shuffle_offset_kernelILj256ElEvPT0_S1_i,"axG",@progbits,_Z21shuffle_offset_kernelILj256ElEvPT0_S1_i,comdat
.Lfunc_end4:
	.size	_Z21shuffle_offset_kernelILj256ElEvPT0_S1_i, .Lfunc_end4-_Z21shuffle_offset_kernelILj256ElEvPT0_S1_i
                                        ; -- End function
	.set _Z21shuffle_offset_kernelILj256ElEvPT0_S1_i.num_vgpr, 6
	.set _Z21shuffle_offset_kernelILj256ElEvPT0_S1_i.num_agpr, 0
	.set _Z21shuffle_offset_kernelILj256ElEvPT0_S1_i.numbered_sgpr, 8
	.set _Z21shuffle_offset_kernelILj256ElEvPT0_S1_i.num_named_barrier, 0
	.set _Z21shuffle_offset_kernelILj256ElEvPT0_S1_i.private_seg_size, 0
	.set _Z21shuffle_offset_kernelILj256ElEvPT0_S1_i.uses_vcc, 1
	.set _Z21shuffle_offset_kernelILj256ElEvPT0_S1_i.uses_flat_scratch, 0
	.set _Z21shuffle_offset_kernelILj256ElEvPT0_S1_i.has_dyn_sized_stack, 0
	.set _Z21shuffle_offset_kernelILj256ElEvPT0_S1_i.has_recursion, 0
	.set _Z21shuffle_offset_kernelILj256ElEvPT0_S1_i.has_indirect_call, 0
	.section	.AMDGPU.csdata,"",@progbits
; Kernel info:
; codeLenInByte = 192
; TotalNumSgprs: 10
; NumVgprs: 6
; ScratchSize: 0
; MemoryBound: 0
; FloatMode: 240
; IeeeMode: 1
; LDSByteSize: 2048 bytes/workgroup (compile time only)
; SGPRBlocks: 0
; VGPRBlocks: 0
; NumSGPRsForWavesPerEU: 10
; NumVGPRsForWavesPerEU: 6
; Occupancy: 16
; WaveLimiterHint : 0
; COMPUTE_PGM_RSRC2:SCRATCH_EN: 0
; COMPUTE_PGM_RSRC2:USER_SGPR: 2
; COMPUTE_PGM_RSRC2:TRAP_HANDLER: 0
; COMPUTE_PGM_RSRC2:TGID_X_EN: 1
; COMPUTE_PGM_RSRC2:TGID_Y_EN: 0
; COMPUTE_PGM_RSRC2:TGID_Z_EN: 0
; COMPUTE_PGM_RSRC2:TIDIG_COMP_CNT: 0
	.section	.text._Z21shuffle_offset_kernelILj64ElEvPT0_S1_i,"axG",@progbits,_Z21shuffle_offset_kernelILj64ElEvPT0_S1_i,comdat
	.protected	_Z21shuffle_offset_kernelILj64ElEvPT0_S1_i ; -- Begin function _Z21shuffle_offset_kernelILj64ElEvPT0_S1_i
	.globl	_Z21shuffle_offset_kernelILj64ElEvPT0_S1_i
	.p2align	8
	.type	_Z21shuffle_offset_kernelILj64ElEvPT0_S1_i,@function
_Z21shuffle_offset_kernelILj64ElEvPT0_S1_i: ; @_Z21shuffle_offset_kernelILj64ElEvPT0_S1_i
; %bb.0:
	s_clause 0x1
	s_load_b128 s[4:7], s[0:1], 0x0
	s_load_b32 s0, s[0:1], 0x10
	v_mov_b32_e32 v2, 0
	v_lshl_or_b32 v1, ttmp9, 6, v0
	s_mov_b32 s1, exec_lo
	s_wait_kmcnt 0x0
	v_add_nc_u32_e32 v5, s0, v0
	s_delay_alu instid0(VALU_DEP_2) | instskip(SKIP_1) | instid1(VALU_DEP_2)
	v_lshlrev_b64_e32 v[1:2], 3, v[1:2]
	v_lshlrev_b32_e32 v0, 3, v0
	v_add_co_u32 v3, vcc_lo, s4, v1
	s_delay_alu instid0(VALU_DEP_1)
	v_add_co_ci_u32_e64 v4, null, s5, v2, vcc_lo
	global_load_b64 v[3:4], v[3:4], off
	s_wait_loadcnt 0x0
	ds_store_b64 v0, v[3:4]
	s_wait_dscnt 0x0
	s_barrier_signal -1
	s_barrier_wait -1
	global_inv scope:SCOPE_SE
	v_cmpx_gt_u32_e32 64, v5
	s_cbranch_execz .LBB5_2
; %bb.1:
	v_lshl_add_u32 v0, s0, 3, v0
	ds_load_b64 v[3:4], v0
	v_add_co_u32 v0, vcc_lo, s6, v1
	s_wait_alu 0xfffd
	v_add_co_ci_u32_e64 v1, null, s7, v2, vcc_lo
	s_wait_dscnt 0x0
	global_store_b64 v[0:1], v[3:4], off
.LBB5_2:
	s_endpgm
	.section	.rodata,"a",@progbits
	.p2align	6, 0x0
	.amdhsa_kernel _Z21shuffle_offset_kernelILj64ElEvPT0_S1_i
		.amdhsa_group_segment_fixed_size 512
		.amdhsa_private_segment_fixed_size 0
		.amdhsa_kernarg_size 20
		.amdhsa_user_sgpr_count 2
		.amdhsa_user_sgpr_dispatch_ptr 0
		.amdhsa_user_sgpr_queue_ptr 0
		.amdhsa_user_sgpr_kernarg_segment_ptr 1
		.amdhsa_user_sgpr_dispatch_id 0
		.amdhsa_user_sgpr_private_segment_size 0
		.amdhsa_wavefront_size32 1
		.amdhsa_uses_dynamic_stack 0
		.amdhsa_enable_private_segment 0
		.amdhsa_system_sgpr_workgroup_id_x 1
		.amdhsa_system_sgpr_workgroup_id_y 0
		.amdhsa_system_sgpr_workgroup_id_z 0
		.amdhsa_system_sgpr_workgroup_info 0
		.amdhsa_system_vgpr_workitem_id 0
		.amdhsa_next_free_vgpr 6
		.amdhsa_next_free_sgpr 8
		.amdhsa_reserve_vcc 1
		.amdhsa_float_round_mode_32 0
		.amdhsa_float_round_mode_16_64 0
		.amdhsa_float_denorm_mode_32 3
		.amdhsa_float_denorm_mode_16_64 3
		.amdhsa_fp16_overflow 0
		.amdhsa_workgroup_processor_mode 1
		.amdhsa_memory_ordered 1
		.amdhsa_forward_progress 1
		.amdhsa_inst_pref_size 2
		.amdhsa_round_robin_scheduling 0
		.amdhsa_exception_fp_ieee_invalid_op 0
		.amdhsa_exception_fp_denorm_src 0
		.amdhsa_exception_fp_ieee_div_zero 0
		.amdhsa_exception_fp_ieee_overflow 0
		.amdhsa_exception_fp_ieee_underflow 0
		.amdhsa_exception_fp_ieee_inexact 0
		.amdhsa_exception_int_div_zero 0
	.end_amdhsa_kernel
	.section	.text._Z21shuffle_offset_kernelILj64ElEvPT0_S1_i,"axG",@progbits,_Z21shuffle_offset_kernelILj64ElEvPT0_S1_i,comdat
.Lfunc_end5:
	.size	_Z21shuffle_offset_kernelILj64ElEvPT0_S1_i, .Lfunc_end5-_Z21shuffle_offset_kernelILj64ElEvPT0_S1_i
                                        ; -- End function
	.set _Z21shuffle_offset_kernelILj64ElEvPT0_S1_i.num_vgpr, 6
	.set _Z21shuffle_offset_kernelILj64ElEvPT0_S1_i.num_agpr, 0
	.set _Z21shuffle_offset_kernelILj64ElEvPT0_S1_i.numbered_sgpr, 8
	.set _Z21shuffle_offset_kernelILj64ElEvPT0_S1_i.num_named_barrier, 0
	.set _Z21shuffle_offset_kernelILj64ElEvPT0_S1_i.private_seg_size, 0
	.set _Z21shuffle_offset_kernelILj64ElEvPT0_S1_i.uses_vcc, 1
	.set _Z21shuffle_offset_kernelILj64ElEvPT0_S1_i.uses_flat_scratch, 0
	.set _Z21shuffle_offset_kernelILj64ElEvPT0_S1_i.has_dyn_sized_stack, 0
	.set _Z21shuffle_offset_kernelILj64ElEvPT0_S1_i.has_recursion, 0
	.set _Z21shuffle_offset_kernelILj64ElEvPT0_S1_i.has_indirect_call, 0
	.section	.AMDGPU.csdata,"",@progbits
; Kernel info:
; codeLenInByte = 188
; TotalNumSgprs: 10
; NumVgprs: 6
; ScratchSize: 0
; MemoryBound: 0
; FloatMode: 240
; IeeeMode: 1
; LDSByteSize: 512 bytes/workgroup (compile time only)
; SGPRBlocks: 0
; VGPRBlocks: 0
; NumSGPRsForWavesPerEU: 10
; NumVGPRsForWavesPerEU: 6
; Occupancy: 16
; WaveLimiterHint : 0
; COMPUTE_PGM_RSRC2:SCRATCH_EN: 0
; COMPUTE_PGM_RSRC2:USER_SGPR: 2
; COMPUTE_PGM_RSRC2:TRAP_HANDLER: 0
; COMPUTE_PGM_RSRC2:TGID_X_EN: 1
; COMPUTE_PGM_RSRC2:TGID_Y_EN: 0
; COMPUTE_PGM_RSRC2:TGID_Z_EN: 0
; COMPUTE_PGM_RSRC2:TIDIG_COMP_CNT: 0
	.section	.text._Z21shuffle_offset_kernelILj377EjEvPT0_S1_i,"axG",@progbits,_Z21shuffle_offset_kernelILj377EjEvPT0_S1_i,comdat
	.protected	_Z21shuffle_offset_kernelILj377EjEvPT0_S1_i ; -- Begin function _Z21shuffle_offset_kernelILj377EjEvPT0_S1_i
	.globl	_Z21shuffle_offset_kernelILj377EjEvPT0_S1_i
	.p2align	8
	.type	_Z21shuffle_offset_kernelILj377EjEvPT0_S1_i,@function
_Z21shuffle_offset_kernelILj377EjEvPT0_S1_i: ; @_Z21shuffle_offset_kernelILj377EjEvPT0_S1_i
; %bb.0:
	s_load_b128 s[4:7], s[0:1], 0x0
	v_mad_co_u64_u32 v[1:2], null, 0x179, ttmp9, v[0:1]
	v_mov_b32_e32 v2, 0
	s_load_b32 s0, s[0:1], 0x10
	s_mov_b32 s1, exec_lo
	s_delay_alu instid0(VALU_DEP_1) | instskip(SKIP_1) | instid1(VALU_DEP_1)
	v_lshlrev_b64_e32 v[1:2], 2, v[1:2]
	s_wait_kmcnt 0x0
	v_add_co_u32 v3, vcc_lo, s4, v1
	s_delay_alu instid0(VALU_DEP_1)
	v_add_co_ci_u32_e64 v4, null, s5, v2, vcc_lo
	global_load_b32 v3, v[3:4], off
	v_add_nc_u32_e32 v4, s0, v0
	v_lshlrev_b32_e32 v0, 2, v0
	s_wait_loadcnt 0x0
	ds_store_b32 v0, v3
	s_wait_dscnt 0x0
	s_barrier_signal -1
	s_barrier_wait -1
	global_inv scope:SCOPE_SE
	v_cmpx_gt_u32_e32 0x179, v4
	s_cbranch_execz .LBB6_2
; %bb.1:
	v_lshl_add_u32 v0, s0, 2, v0
	ds_load_b32 v3, v0
	v_add_co_u32 v0, vcc_lo, s6, v1
	s_wait_alu 0xfffd
	v_add_co_ci_u32_e64 v1, null, s7, v2, vcc_lo
	s_wait_dscnt 0x0
	global_store_b32 v[0:1], v3, off
.LBB6_2:
	s_endpgm
	.section	.rodata,"a",@progbits
	.p2align	6, 0x0
	.amdhsa_kernel _Z21shuffle_offset_kernelILj377EjEvPT0_S1_i
		.amdhsa_group_segment_fixed_size 1508
		.amdhsa_private_segment_fixed_size 0
		.amdhsa_kernarg_size 20
		.amdhsa_user_sgpr_count 2
		.amdhsa_user_sgpr_dispatch_ptr 0
		.amdhsa_user_sgpr_queue_ptr 0
		.amdhsa_user_sgpr_kernarg_segment_ptr 1
		.amdhsa_user_sgpr_dispatch_id 0
		.amdhsa_user_sgpr_private_segment_size 0
		.amdhsa_wavefront_size32 1
		.amdhsa_uses_dynamic_stack 0
		.amdhsa_enable_private_segment 0
		.amdhsa_system_sgpr_workgroup_id_x 1
		.amdhsa_system_sgpr_workgroup_id_y 0
		.amdhsa_system_sgpr_workgroup_id_z 0
		.amdhsa_system_sgpr_workgroup_info 0
		.amdhsa_system_vgpr_workitem_id 0
		.amdhsa_next_free_vgpr 5
		.amdhsa_next_free_sgpr 8
		.amdhsa_reserve_vcc 1
		.amdhsa_float_round_mode_32 0
		.amdhsa_float_round_mode_16_64 0
		.amdhsa_float_denorm_mode_32 3
		.amdhsa_float_denorm_mode_16_64 3
		.amdhsa_fp16_overflow 0
		.amdhsa_workgroup_processor_mode 1
		.amdhsa_memory_ordered 1
		.amdhsa_forward_progress 1
		.amdhsa_inst_pref_size 2
		.amdhsa_round_robin_scheduling 0
		.amdhsa_exception_fp_ieee_invalid_op 0
		.amdhsa_exception_fp_denorm_src 0
		.amdhsa_exception_fp_ieee_div_zero 0
		.amdhsa_exception_fp_ieee_overflow 0
		.amdhsa_exception_fp_ieee_underflow 0
		.amdhsa_exception_fp_ieee_inexact 0
		.amdhsa_exception_int_div_zero 0
	.end_amdhsa_kernel
	.section	.text._Z21shuffle_offset_kernelILj377EjEvPT0_S1_i,"axG",@progbits,_Z21shuffle_offset_kernelILj377EjEvPT0_S1_i,comdat
.Lfunc_end6:
	.size	_Z21shuffle_offset_kernelILj377EjEvPT0_S1_i, .Lfunc_end6-_Z21shuffle_offset_kernelILj377EjEvPT0_S1_i
                                        ; -- End function
	.set _Z21shuffle_offset_kernelILj377EjEvPT0_S1_i.num_vgpr, 5
	.set _Z21shuffle_offset_kernelILj377EjEvPT0_S1_i.num_agpr, 0
	.set _Z21shuffle_offset_kernelILj377EjEvPT0_S1_i.numbered_sgpr, 8
	.set _Z21shuffle_offset_kernelILj377EjEvPT0_S1_i.num_named_barrier, 0
	.set _Z21shuffle_offset_kernelILj377EjEvPT0_S1_i.private_seg_size, 0
	.set _Z21shuffle_offset_kernelILj377EjEvPT0_S1_i.uses_vcc, 1
	.set _Z21shuffle_offset_kernelILj377EjEvPT0_S1_i.uses_flat_scratch, 0
	.set _Z21shuffle_offset_kernelILj377EjEvPT0_S1_i.has_dyn_sized_stack, 0
	.set _Z21shuffle_offset_kernelILj377EjEvPT0_S1_i.has_recursion, 0
	.set _Z21shuffle_offset_kernelILj377EjEvPT0_S1_i.has_indirect_call, 0
	.section	.AMDGPU.csdata,"",@progbits
; Kernel info:
; codeLenInByte = 192
; TotalNumSgprs: 10
; NumVgprs: 5
; ScratchSize: 0
; MemoryBound: 0
; FloatMode: 240
; IeeeMode: 1
; LDSByteSize: 1508 bytes/workgroup (compile time only)
; SGPRBlocks: 0
; VGPRBlocks: 0
; NumSGPRsForWavesPerEU: 10
; NumVGPRsForWavesPerEU: 5
; Occupancy: 16
; WaveLimiterHint : 0
; COMPUTE_PGM_RSRC2:SCRATCH_EN: 0
; COMPUTE_PGM_RSRC2:USER_SGPR: 2
; COMPUTE_PGM_RSRC2:TRAP_HANDLER: 0
; COMPUTE_PGM_RSRC2:TGID_X_EN: 1
; COMPUTE_PGM_RSRC2:TGID_Y_EN: 0
; COMPUTE_PGM_RSRC2:TGID_Z_EN: 0
; COMPUTE_PGM_RSRC2:TIDIG_COMP_CNT: 0
	.section	.text._Z21shuffle_offset_kernelILj256EjEvPT0_S1_i,"axG",@progbits,_Z21shuffle_offset_kernelILj256EjEvPT0_S1_i,comdat
	.protected	_Z21shuffle_offset_kernelILj256EjEvPT0_S1_i ; -- Begin function _Z21shuffle_offset_kernelILj256EjEvPT0_S1_i
	.globl	_Z21shuffle_offset_kernelILj256EjEvPT0_S1_i
	.p2align	8
	.type	_Z21shuffle_offset_kernelILj256EjEvPT0_S1_i,@function
_Z21shuffle_offset_kernelILj256EjEvPT0_S1_i: ; @_Z21shuffle_offset_kernelILj256EjEvPT0_S1_i
; %bb.0:
	s_load_b128 s[4:7], s[0:1], 0x0
	v_mov_b32_e32 v2, 0
	v_lshl_or_b32 v1, ttmp9, 8, v0
	s_load_b32 s0, s[0:1], 0x10
	s_mov_b32 s1, exec_lo
	s_delay_alu instid0(VALU_DEP_1) | instskip(SKIP_1) | instid1(VALU_DEP_1)
	v_lshlrev_b64_e32 v[1:2], 2, v[1:2]
	s_wait_kmcnt 0x0
	v_add_co_u32 v3, vcc_lo, s4, v1
	s_delay_alu instid0(VALU_DEP_1)
	v_add_co_ci_u32_e64 v4, null, s5, v2, vcc_lo
	global_load_b32 v3, v[3:4], off
	v_add_nc_u32_e32 v4, s0, v0
	v_lshlrev_b32_e32 v0, 2, v0
	s_wait_loadcnt 0x0
	ds_store_b32 v0, v3
	s_wait_dscnt 0x0
	s_barrier_signal -1
	s_barrier_wait -1
	global_inv scope:SCOPE_SE
	v_cmpx_gt_u32_e32 0x100, v4
	s_cbranch_execz .LBB7_2
; %bb.1:
	v_lshl_add_u32 v0, s0, 2, v0
	ds_load_b32 v3, v0
	v_add_co_u32 v0, vcc_lo, s6, v1
	s_wait_alu 0xfffd
	v_add_co_ci_u32_e64 v1, null, s7, v2, vcc_lo
	s_wait_dscnt 0x0
	global_store_b32 v[0:1], v3, off
.LBB7_2:
	s_endpgm
	.section	.rodata,"a",@progbits
	.p2align	6, 0x0
	.amdhsa_kernel _Z21shuffle_offset_kernelILj256EjEvPT0_S1_i
		.amdhsa_group_segment_fixed_size 1024
		.amdhsa_private_segment_fixed_size 0
		.amdhsa_kernarg_size 20
		.amdhsa_user_sgpr_count 2
		.amdhsa_user_sgpr_dispatch_ptr 0
		.amdhsa_user_sgpr_queue_ptr 0
		.amdhsa_user_sgpr_kernarg_segment_ptr 1
		.amdhsa_user_sgpr_dispatch_id 0
		.amdhsa_user_sgpr_private_segment_size 0
		.amdhsa_wavefront_size32 1
		.amdhsa_uses_dynamic_stack 0
		.amdhsa_enable_private_segment 0
		.amdhsa_system_sgpr_workgroup_id_x 1
		.amdhsa_system_sgpr_workgroup_id_y 0
		.amdhsa_system_sgpr_workgroup_id_z 0
		.amdhsa_system_sgpr_workgroup_info 0
		.amdhsa_system_vgpr_workitem_id 0
		.amdhsa_next_free_vgpr 5
		.amdhsa_next_free_sgpr 8
		.amdhsa_reserve_vcc 1
		.amdhsa_float_round_mode_32 0
		.amdhsa_float_round_mode_16_64 0
		.amdhsa_float_denorm_mode_32 3
		.amdhsa_float_denorm_mode_16_64 3
		.amdhsa_fp16_overflow 0
		.amdhsa_workgroup_processor_mode 1
		.amdhsa_memory_ordered 1
		.amdhsa_forward_progress 1
		.amdhsa_inst_pref_size 2
		.amdhsa_round_robin_scheduling 0
		.amdhsa_exception_fp_ieee_invalid_op 0
		.amdhsa_exception_fp_denorm_src 0
		.amdhsa_exception_fp_ieee_div_zero 0
		.amdhsa_exception_fp_ieee_overflow 0
		.amdhsa_exception_fp_ieee_underflow 0
		.amdhsa_exception_fp_ieee_inexact 0
		.amdhsa_exception_int_div_zero 0
	.end_amdhsa_kernel
	.section	.text._Z21shuffle_offset_kernelILj256EjEvPT0_S1_i,"axG",@progbits,_Z21shuffle_offset_kernelILj256EjEvPT0_S1_i,comdat
.Lfunc_end7:
	.size	_Z21shuffle_offset_kernelILj256EjEvPT0_S1_i, .Lfunc_end7-_Z21shuffle_offset_kernelILj256EjEvPT0_S1_i
                                        ; -- End function
	.set _Z21shuffle_offset_kernelILj256EjEvPT0_S1_i.num_vgpr, 5
	.set _Z21shuffle_offset_kernelILj256EjEvPT0_S1_i.num_agpr, 0
	.set _Z21shuffle_offset_kernelILj256EjEvPT0_S1_i.numbered_sgpr, 8
	.set _Z21shuffle_offset_kernelILj256EjEvPT0_S1_i.num_named_barrier, 0
	.set _Z21shuffle_offset_kernelILj256EjEvPT0_S1_i.private_seg_size, 0
	.set _Z21shuffle_offset_kernelILj256EjEvPT0_S1_i.uses_vcc, 1
	.set _Z21shuffle_offset_kernelILj256EjEvPT0_S1_i.uses_flat_scratch, 0
	.set _Z21shuffle_offset_kernelILj256EjEvPT0_S1_i.has_dyn_sized_stack, 0
	.set _Z21shuffle_offset_kernelILj256EjEvPT0_S1_i.has_recursion, 0
	.set _Z21shuffle_offset_kernelILj256EjEvPT0_S1_i.has_indirect_call, 0
	.section	.AMDGPU.csdata,"",@progbits
; Kernel info:
; codeLenInByte = 188
; TotalNumSgprs: 10
; NumVgprs: 5
; ScratchSize: 0
; MemoryBound: 0
; FloatMode: 240
; IeeeMode: 1
; LDSByteSize: 1024 bytes/workgroup (compile time only)
; SGPRBlocks: 0
; VGPRBlocks: 0
; NumSGPRsForWavesPerEU: 10
; NumVGPRsForWavesPerEU: 5
; Occupancy: 16
; WaveLimiterHint : 0
; COMPUTE_PGM_RSRC2:SCRATCH_EN: 0
; COMPUTE_PGM_RSRC2:USER_SGPR: 2
; COMPUTE_PGM_RSRC2:TRAP_HANDLER: 0
; COMPUTE_PGM_RSRC2:TGID_X_EN: 1
; COMPUTE_PGM_RSRC2:TGID_Y_EN: 0
; COMPUTE_PGM_RSRC2:TGID_Z_EN: 0
; COMPUTE_PGM_RSRC2:TIDIG_COMP_CNT: 0
	.section	.text._Z21shuffle_offset_kernelILj64EjEvPT0_S1_i,"axG",@progbits,_Z21shuffle_offset_kernelILj64EjEvPT0_S1_i,comdat
	.protected	_Z21shuffle_offset_kernelILj64EjEvPT0_S1_i ; -- Begin function _Z21shuffle_offset_kernelILj64EjEvPT0_S1_i
	.globl	_Z21shuffle_offset_kernelILj64EjEvPT0_S1_i
	.p2align	8
	.type	_Z21shuffle_offset_kernelILj64EjEvPT0_S1_i,@function
_Z21shuffle_offset_kernelILj64EjEvPT0_S1_i: ; @_Z21shuffle_offset_kernelILj64EjEvPT0_S1_i
; %bb.0:
	s_load_b128 s[4:7], s[0:1], 0x0
	v_mov_b32_e32 v2, 0
	v_lshl_or_b32 v1, ttmp9, 6, v0
	s_load_b32 s0, s[0:1], 0x10
	s_mov_b32 s1, exec_lo
	s_delay_alu instid0(VALU_DEP_1) | instskip(SKIP_1) | instid1(VALU_DEP_1)
	v_lshlrev_b64_e32 v[1:2], 2, v[1:2]
	s_wait_kmcnt 0x0
	v_add_co_u32 v3, vcc_lo, s4, v1
	s_delay_alu instid0(VALU_DEP_1)
	v_add_co_ci_u32_e64 v4, null, s5, v2, vcc_lo
	global_load_b32 v3, v[3:4], off
	v_add_nc_u32_e32 v4, s0, v0
	v_lshlrev_b32_e32 v0, 2, v0
	s_wait_loadcnt 0x0
	ds_store_b32 v0, v3
	s_wait_dscnt 0x0
	s_barrier_signal -1
	s_barrier_wait -1
	global_inv scope:SCOPE_SE
	v_cmpx_gt_u32_e32 64, v4
	s_cbranch_execz .LBB8_2
; %bb.1:
	v_lshl_add_u32 v0, s0, 2, v0
	ds_load_b32 v3, v0
	v_add_co_u32 v0, vcc_lo, s6, v1
	s_wait_alu 0xfffd
	v_add_co_ci_u32_e64 v1, null, s7, v2, vcc_lo
	s_wait_dscnt 0x0
	global_store_b32 v[0:1], v3, off
.LBB8_2:
	s_endpgm
	.section	.rodata,"a",@progbits
	.p2align	6, 0x0
	.amdhsa_kernel _Z21shuffle_offset_kernelILj64EjEvPT0_S1_i
		.amdhsa_group_segment_fixed_size 256
		.amdhsa_private_segment_fixed_size 0
		.amdhsa_kernarg_size 20
		.amdhsa_user_sgpr_count 2
		.amdhsa_user_sgpr_dispatch_ptr 0
		.amdhsa_user_sgpr_queue_ptr 0
		.amdhsa_user_sgpr_kernarg_segment_ptr 1
		.amdhsa_user_sgpr_dispatch_id 0
		.amdhsa_user_sgpr_private_segment_size 0
		.amdhsa_wavefront_size32 1
		.amdhsa_uses_dynamic_stack 0
		.amdhsa_enable_private_segment 0
		.amdhsa_system_sgpr_workgroup_id_x 1
		.amdhsa_system_sgpr_workgroup_id_y 0
		.amdhsa_system_sgpr_workgroup_id_z 0
		.amdhsa_system_sgpr_workgroup_info 0
		.amdhsa_system_vgpr_workitem_id 0
		.amdhsa_next_free_vgpr 5
		.amdhsa_next_free_sgpr 8
		.amdhsa_reserve_vcc 1
		.amdhsa_float_round_mode_32 0
		.amdhsa_float_round_mode_16_64 0
		.amdhsa_float_denorm_mode_32 3
		.amdhsa_float_denorm_mode_16_64 3
		.amdhsa_fp16_overflow 0
		.amdhsa_workgroup_processor_mode 1
		.amdhsa_memory_ordered 1
		.amdhsa_forward_progress 1
		.amdhsa_inst_pref_size 2
		.amdhsa_round_robin_scheduling 0
		.amdhsa_exception_fp_ieee_invalid_op 0
		.amdhsa_exception_fp_denorm_src 0
		.amdhsa_exception_fp_ieee_div_zero 0
		.amdhsa_exception_fp_ieee_overflow 0
		.amdhsa_exception_fp_ieee_underflow 0
		.amdhsa_exception_fp_ieee_inexact 0
		.amdhsa_exception_int_div_zero 0
	.end_amdhsa_kernel
	.section	.text._Z21shuffle_offset_kernelILj64EjEvPT0_S1_i,"axG",@progbits,_Z21shuffle_offset_kernelILj64EjEvPT0_S1_i,comdat
.Lfunc_end8:
	.size	_Z21shuffle_offset_kernelILj64EjEvPT0_S1_i, .Lfunc_end8-_Z21shuffle_offset_kernelILj64EjEvPT0_S1_i
                                        ; -- End function
	.set _Z21shuffle_offset_kernelILj64EjEvPT0_S1_i.num_vgpr, 5
	.set _Z21shuffle_offset_kernelILj64EjEvPT0_S1_i.num_agpr, 0
	.set _Z21shuffle_offset_kernelILj64EjEvPT0_S1_i.numbered_sgpr, 8
	.set _Z21shuffle_offset_kernelILj64EjEvPT0_S1_i.num_named_barrier, 0
	.set _Z21shuffle_offset_kernelILj64EjEvPT0_S1_i.private_seg_size, 0
	.set _Z21shuffle_offset_kernelILj64EjEvPT0_S1_i.uses_vcc, 1
	.set _Z21shuffle_offset_kernelILj64EjEvPT0_S1_i.uses_flat_scratch, 0
	.set _Z21shuffle_offset_kernelILj64EjEvPT0_S1_i.has_dyn_sized_stack, 0
	.set _Z21shuffle_offset_kernelILj64EjEvPT0_S1_i.has_recursion, 0
	.set _Z21shuffle_offset_kernelILj64EjEvPT0_S1_i.has_indirect_call, 0
	.section	.AMDGPU.csdata,"",@progbits
; Kernel info:
; codeLenInByte = 184
; TotalNumSgprs: 10
; NumVgprs: 5
; ScratchSize: 0
; MemoryBound: 0
; FloatMode: 240
; IeeeMode: 1
; LDSByteSize: 256 bytes/workgroup (compile time only)
; SGPRBlocks: 0
; VGPRBlocks: 0
; NumSGPRsForWavesPerEU: 10
; NumVGPRsForWavesPerEU: 5
; Occupancy: 16
; WaveLimiterHint : 0
; COMPUTE_PGM_RSRC2:SCRATCH_EN: 0
; COMPUTE_PGM_RSRC2:USER_SGPR: 2
; COMPUTE_PGM_RSRC2:TRAP_HANDLER: 0
; COMPUTE_PGM_RSRC2:TGID_X_EN: 1
; COMPUTE_PGM_RSRC2:TGID_Y_EN: 0
; COMPUTE_PGM_RSRC2:TGID_Z_EN: 0
; COMPUTE_PGM_RSRC2:TIDIG_COMP_CNT: 0
	.section	.text._Z21shuffle_offset_kernelILj255EiEvPT0_S1_i,"axG",@progbits,_Z21shuffle_offset_kernelILj255EiEvPT0_S1_i,comdat
	.protected	_Z21shuffle_offset_kernelILj255EiEvPT0_S1_i ; -- Begin function _Z21shuffle_offset_kernelILj255EiEvPT0_S1_i
	.globl	_Z21shuffle_offset_kernelILj255EiEvPT0_S1_i
	.p2align	8
	.type	_Z21shuffle_offset_kernelILj255EiEvPT0_S1_i,@function
_Z21shuffle_offset_kernelILj255EiEvPT0_S1_i: ; @_Z21shuffle_offset_kernelILj255EiEvPT0_S1_i
; %bb.0:
	s_load_b128 s[4:7], s[0:1], 0x0
	v_mad_co_u64_u32 v[1:2], null, 0xff, ttmp9, v[0:1]
	v_mov_b32_e32 v2, 0
	s_load_b32 s0, s[0:1], 0x10
	s_mov_b32 s1, exec_lo
	s_delay_alu instid0(VALU_DEP_1) | instskip(SKIP_1) | instid1(VALU_DEP_1)
	v_lshlrev_b64_e32 v[1:2], 2, v[1:2]
	s_wait_kmcnt 0x0
	v_add_co_u32 v3, vcc_lo, s4, v1
	s_delay_alu instid0(VALU_DEP_1)
	v_add_co_ci_u32_e64 v4, null, s5, v2, vcc_lo
	global_load_b32 v3, v[3:4], off
	v_add_nc_u32_e32 v4, s0, v0
	v_lshlrev_b32_e32 v0, 2, v0
	s_wait_loadcnt 0x0
	ds_store_b32 v0, v3
	s_wait_dscnt 0x0
	s_barrier_signal -1
	s_barrier_wait -1
	global_inv scope:SCOPE_SE
	v_cmpx_gt_u32_e32 0xff, v4
	s_cbranch_execz .LBB9_2
; %bb.1:
	v_lshl_add_u32 v0, s0, 2, v0
	ds_load_b32 v3, v0
	v_add_co_u32 v0, vcc_lo, s6, v1
	s_wait_alu 0xfffd
	v_add_co_ci_u32_e64 v1, null, s7, v2, vcc_lo
	s_wait_dscnt 0x0
	global_store_b32 v[0:1], v3, off
.LBB9_2:
	s_endpgm
	.section	.rodata,"a",@progbits
	.p2align	6, 0x0
	.amdhsa_kernel _Z21shuffle_offset_kernelILj255EiEvPT0_S1_i
		.amdhsa_group_segment_fixed_size 1020
		.amdhsa_private_segment_fixed_size 0
		.amdhsa_kernarg_size 20
		.amdhsa_user_sgpr_count 2
		.amdhsa_user_sgpr_dispatch_ptr 0
		.amdhsa_user_sgpr_queue_ptr 0
		.amdhsa_user_sgpr_kernarg_segment_ptr 1
		.amdhsa_user_sgpr_dispatch_id 0
		.amdhsa_user_sgpr_private_segment_size 0
		.amdhsa_wavefront_size32 1
		.amdhsa_uses_dynamic_stack 0
		.amdhsa_enable_private_segment 0
		.amdhsa_system_sgpr_workgroup_id_x 1
		.amdhsa_system_sgpr_workgroup_id_y 0
		.amdhsa_system_sgpr_workgroup_id_z 0
		.amdhsa_system_sgpr_workgroup_info 0
		.amdhsa_system_vgpr_workitem_id 0
		.amdhsa_next_free_vgpr 5
		.amdhsa_next_free_sgpr 8
		.amdhsa_reserve_vcc 1
		.amdhsa_float_round_mode_32 0
		.amdhsa_float_round_mode_16_64 0
		.amdhsa_float_denorm_mode_32 3
		.amdhsa_float_denorm_mode_16_64 3
		.amdhsa_fp16_overflow 0
		.amdhsa_workgroup_processor_mode 1
		.amdhsa_memory_ordered 1
		.amdhsa_forward_progress 1
		.amdhsa_inst_pref_size 2
		.amdhsa_round_robin_scheduling 0
		.amdhsa_exception_fp_ieee_invalid_op 0
		.amdhsa_exception_fp_denorm_src 0
		.amdhsa_exception_fp_ieee_div_zero 0
		.amdhsa_exception_fp_ieee_overflow 0
		.amdhsa_exception_fp_ieee_underflow 0
		.amdhsa_exception_fp_ieee_inexact 0
		.amdhsa_exception_int_div_zero 0
	.end_amdhsa_kernel
	.section	.text._Z21shuffle_offset_kernelILj255EiEvPT0_S1_i,"axG",@progbits,_Z21shuffle_offset_kernelILj255EiEvPT0_S1_i,comdat
.Lfunc_end9:
	.size	_Z21shuffle_offset_kernelILj255EiEvPT0_S1_i, .Lfunc_end9-_Z21shuffle_offset_kernelILj255EiEvPT0_S1_i
                                        ; -- End function
	.set _Z21shuffle_offset_kernelILj255EiEvPT0_S1_i.num_vgpr, 5
	.set _Z21shuffle_offset_kernelILj255EiEvPT0_S1_i.num_agpr, 0
	.set _Z21shuffle_offset_kernelILj255EiEvPT0_S1_i.numbered_sgpr, 8
	.set _Z21shuffle_offset_kernelILj255EiEvPT0_S1_i.num_named_barrier, 0
	.set _Z21shuffle_offset_kernelILj255EiEvPT0_S1_i.private_seg_size, 0
	.set _Z21shuffle_offset_kernelILj255EiEvPT0_S1_i.uses_vcc, 1
	.set _Z21shuffle_offset_kernelILj255EiEvPT0_S1_i.uses_flat_scratch, 0
	.set _Z21shuffle_offset_kernelILj255EiEvPT0_S1_i.has_dyn_sized_stack, 0
	.set _Z21shuffle_offset_kernelILj255EiEvPT0_S1_i.has_recursion, 0
	.set _Z21shuffle_offset_kernelILj255EiEvPT0_S1_i.has_indirect_call, 0
	.section	.AMDGPU.csdata,"",@progbits
; Kernel info:
; codeLenInByte = 192
; TotalNumSgprs: 10
; NumVgprs: 5
; ScratchSize: 0
; MemoryBound: 0
; FloatMode: 240
; IeeeMode: 1
; LDSByteSize: 1020 bytes/workgroup (compile time only)
; SGPRBlocks: 0
; VGPRBlocks: 0
; NumSGPRsForWavesPerEU: 10
; NumVGPRsForWavesPerEU: 5
; Occupancy: 16
; WaveLimiterHint : 0
; COMPUTE_PGM_RSRC2:SCRATCH_EN: 0
; COMPUTE_PGM_RSRC2:USER_SGPR: 2
; COMPUTE_PGM_RSRC2:TRAP_HANDLER: 0
; COMPUTE_PGM_RSRC2:TGID_X_EN: 1
; COMPUTE_PGM_RSRC2:TGID_Y_EN: 0
; COMPUTE_PGM_RSRC2:TGID_Z_EN: 0
; COMPUTE_PGM_RSRC2:TIDIG_COMP_CNT: 0
	.section	.text._Z21shuffle_offset_kernelILj162EiEvPT0_S1_i,"axG",@progbits,_Z21shuffle_offset_kernelILj162EiEvPT0_S1_i,comdat
	.protected	_Z21shuffle_offset_kernelILj162EiEvPT0_S1_i ; -- Begin function _Z21shuffle_offset_kernelILj162EiEvPT0_S1_i
	.globl	_Z21shuffle_offset_kernelILj162EiEvPT0_S1_i
	.p2align	8
	.type	_Z21shuffle_offset_kernelILj162EiEvPT0_S1_i,@function
_Z21shuffle_offset_kernelILj162EiEvPT0_S1_i: ; @_Z21shuffle_offset_kernelILj162EiEvPT0_S1_i
; %bb.0:
	s_load_b128 s[4:7], s[0:1], 0x0
	v_mad_co_u64_u32 v[1:2], null, 0xa2, ttmp9, v[0:1]
	v_mov_b32_e32 v2, 0
	s_load_b32 s0, s[0:1], 0x10
	s_mov_b32 s1, exec_lo
	s_delay_alu instid0(VALU_DEP_1) | instskip(SKIP_1) | instid1(VALU_DEP_1)
	v_lshlrev_b64_e32 v[1:2], 2, v[1:2]
	s_wait_kmcnt 0x0
	v_add_co_u32 v3, vcc_lo, s4, v1
	s_delay_alu instid0(VALU_DEP_1)
	v_add_co_ci_u32_e64 v4, null, s5, v2, vcc_lo
	global_load_b32 v3, v[3:4], off
	v_add_nc_u32_e32 v4, s0, v0
	v_lshlrev_b32_e32 v0, 2, v0
	s_wait_loadcnt 0x0
	ds_store_b32 v0, v3
	s_wait_dscnt 0x0
	s_barrier_signal -1
	s_barrier_wait -1
	global_inv scope:SCOPE_SE
	v_cmpx_gt_u32_e32 0xa2, v4
	s_cbranch_execz .LBB10_2
; %bb.1:
	v_lshl_add_u32 v0, s0, 2, v0
	ds_load_b32 v3, v0
	v_add_co_u32 v0, vcc_lo, s6, v1
	s_wait_alu 0xfffd
	v_add_co_ci_u32_e64 v1, null, s7, v2, vcc_lo
	s_wait_dscnt 0x0
	global_store_b32 v[0:1], v3, off
.LBB10_2:
	s_endpgm
	.section	.rodata,"a",@progbits
	.p2align	6, 0x0
	.amdhsa_kernel _Z21shuffle_offset_kernelILj162EiEvPT0_S1_i
		.amdhsa_group_segment_fixed_size 648
		.amdhsa_private_segment_fixed_size 0
		.amdhsa_kernarg_size 20
		.amdhsa_user_sgpr_count 2
		.amdhsa_user_sgpr_dispatch_ptr 0
		.amdhsa_user_sgpr_queue_ptr 0
		.amdhsa_user_sgpr_kernarg_segment_ptr 1
		.amdhsa_user_sgpr_dispatch_id 0
		.amdhsa_user_sgpr_private_segment_size 0
		.amdhsa_wavefront_size32 1
		.amdhsa_uses_dynamic_stack 0
		.amdhsa_enable_private_segment 0
		.amdhsa_system_sgpr_workgroup_id_x 1
		.amdhsa_system_sgpr_workgroup_id_y 0
		.amdhsa_system_sgpr_workgroup_id_z 0
		.amdhsa_system_sgpr_workgroup_info 0
		.amdhsa_system_vgpr_workitem_id 0
		.amdhsa_next_free_vgpr 5
		.amdhsa_next_free_sgpr 8
		.amdhsa_reserve_vcc 1
		.amdhsa_float_round_mode_32 0
		.amdhsa_float_round_mode_16_64 0
		.amdhsa_float_denorm_mode_32 3
		.amdhsa_float_denorm_mode_16_64 3
		.amdhsa_fp16_overflow 0
		.amdhsa_workgroup_processor_mode 1
		.amdhsa_memory_ordered 1
		.amdhsa_forward_progress 1
		.amdhsa_inst_pref_size 2
		.amdhsa_round_robin_scheduling 0
		.amdhsa_exception_fp_ieee_invalid_op 0
		.amdhsa_exception_fp_denorm_src 0
		.amdhsa_exception_fp_ieee_div_zero 0
		.amdhsa_exception_fp_ieee_overflow 0
		.amdhsa_exception_fp_ieee_underflow 0
		.amdhsa_exception_fp_ieee_inexact 0
		.amdhsa_exception_int_div_zero 0
	.end_amdhsa_kernel
	.section	.text._Z21shuffle_offset_kernelILj162EiEvPT0_S1_i,"axG",@progbits,_Z21shuffle_offset_kernelILj162EiEvPT0_S1_i,comdat
.Lfunc_end10:
	.size	_Z21shuffle_offset_kernelILj162EiEvPT0_S1_i, .Lfunc_end10-_Z21shuffle_offset_kernelILj162EiEvPT0_S1_i
                                        ; -- End function
	.set _Z21shuffle_offset_kernelILj162EiEvPT0_S1_i.num_vgpr, 5
	.set _Z21shuffle_offset_kernelILj162EiEvPT0_S1_i.num_agpr, 0
	.set _Z21shuffle_offset_kernelILj162EiEvPT0_S1_i.numbered_sgpr, 8
	.set _Z21shuffle_offset_kernelILj162EiEvPT0_S1_i.num_named_barrier, 0
	.set _Z21shuffle_offset_kernelILj162EiEvPT0_S1_i.private_seg_size, 0
	.set _Z21shuffle_offset_kernelILj162EiEvPT0_S1_i.uses_vcc, 1
	.set _Z21shuffle_offset_kernelILj162EiEvPT0_S1_i.uses_flat_scratch, 0
	.set _Z21shuffle_offset_kernelILj162EiEvPT0_S1_i.has_dyn_sized_stack, 0
	.set _Z21shuffle_offset_kernelILj162EiEvPT0_S1_i.has_recursion, 0
	.set _Z21shuffle_offset_kernelILj162EiEvPT0_S1_i.has_indirect_call, 0
	.section	.AMDGPU.csdata,"",@progbits
; Kernel info:
; codeLenInByte = 192
; TotalNumSgprs: 10
; NumVgprs: 5
; ScratchSize: 0
; MemoryBound: 0
; FloatMode: 240
; IeeeMode: 1
; LDSByteSize: 648 bytes/workgroup (compile time only)
; SGPRBlocks: 0
; VGPRBlocks: 0
; NumSGPRsForWavesPerEU: 10
; NumVGPRsForWavesPerEU: 5
; Occupancy: 16
; WaveLimiterHint : 0
; COMPUTE_PGM_RSRC2:SCRATCH_EN: 0
; COMPUTE_PGM_RSRC2:USER_SGPR: 2
; COMPUTE_PGM_RSRC2:TRAP_HANDLER: 0
; COMPUTE_PGM_RSRC2:TGID_X_EN: 1
; COMPUTE_PGM_RSRC2:TGID_Y_EN: 0
; COMPUTE_PGM_RSRC2:TGID_Z_EN: 0
; COMPUTE_PGM_RSRC2:TIDIG_COMP_CNT: 0
	.section	.text._Z21shuffle_offset_kernelILj37EiEvPT0_S1_i,"axG",@progbits,_Z21shuffle_offset_kernelILj37EiEvPT0_S1_i,comdat
	.protected	_Z21shuffle_offset_kernelILj37EiEvPT0_S1_i ; -- Begin function _Z21shuffle_offset_kernelILj37EiEvPT0_S1_i
	.globl	_Z21shuffle_offset_kernelILj37EiEvPT0_S1_i
	.p2align	8
	.type	_Z21shuffle_offset_kernelILj37EiEvPT0_S1_i,@function
_Z21shuffle_offset_kernelILj37EiEvPT0_S1_i: ; @_Z21shuffle_offset_kernelILj37EiEvPT0_S1_i
; %bb.0:
	s_load_b128 s[4:7], s[0:1], 0x0
	v_mad_co_u64_u32 v[1:2], null, ttmp9, 37, v[0:1]
	v_mov_b32_e32 v2, 0
	s_load_b32 s0, s[0:1], 0x10
	s_mov_b32 s1, exec_lo
	s_delay_alu instid0(VALU_DEP_1) | instskip(SKIP_1) | instid1(VALU_DEP_1)
	v_lshlrev_b64_e32 v[1:2], 2, v[1:2]
	s_wait_kmcnt 0x0
	v_add_co_u32 v3, vcc_lo, s4, v1
	s_delay_alu instid0(VALU_DEP_1)
	v_add_co_ci_u32_e64 v4, null, s5, v2, vcc_lo
	global_load_b32 v3, v[3:4], off
	v_add_nc_u32_e32 v4, s0, v0
	v_lshlrev_b32_e32 v0, 2, v0
	s_wait_loadcnt 0x0
	ds_store_b32 v0, v3
	s_wait_dscnt 0x0
	s_barrier_signal -1
	s_barrier_wait -1
	global_inv scope:SCOPE_SE
	v_cmpx_gt_u32_e32 37, v4
	s_cbranch_execz .LBB11_2
; %bb.1:
	v_lshl_add_u32 v0, s0, 2, v0
	ds_load_b32 v3, v0
	v_add_co_u32 v0, vcc_lo, s6, v1
	s_wait_alu 0xfffd
	v_add_co_ci_u32_e64 v1, null, s7, v2, vcc_lo
	s_wait_dscnt 0x0
	global_store_b32 v[0:1], v3, off
.LBB11_2:
	s_endpgm
	.section	.rodata,"a",@progbits
	.p2align	6, 0x0
	.amdhsa_kernel _Z21shuffle_offset_kernelILj37EiEvPT0_S1_i
		.amdhsa_group_segment_fixed_size 148
		.amdhsa_private_segment_fixed_size 0
		.amdhsa_kernarg_size 20
		.amdhsa_user_sgpr_count 2
		.amdhsa_user_sgpr_dispatch_ptr 0
		.amdhsa_user_sgpr_queue_ptr 0
		.amdhsa_user_sgpr_kernarg_segment_ptr 1
		.amdhsa_user_sgpr_dispatch_id 0
		.amdhsa_user_sgpr_private_segment_size 0
		.amdhsa_wavefront_size32 1
		.amdhsa_uses_dynamic_stack 0
		.amdhsa_enable_private_segment 0
		.amdhsa_system_sgpr_workgroup_id_x 1
		.amdhsa_system_sgpr_workgroup_id_y 0
		.amdhsa_system_sgpr_workgroup_id_z 0
		.amdhsa_system_sgpr_workgroup_info 0
		.amdhsa_system_vgpr_workitem_id 0
		.amdhsa_next_free_vgpr 5
		.amdhsa_next_free_sgpr 8
		.amdhsa_reserve_vcc 1
		.amdhsa_float_round_mode_32 0
		.amdhsa_float_round_mode_16_64 0
		.amdhsa_float_denorm_mode_32 3
		.amdhsa_float_denorm_mode_16_64 3
		.amdhsa_fp16_overflow 0
		.amdhsa_workgroup_processor_mode 1
		.amdhsa_memory_ordered 1
		.amdhsa_forward_progress 1
		.amdhsa_inst_pref_size 2
		.amdhsa_round_robin_scheduling 0
		.amdhsa_exception_fp_ieee_invalid_op 0
		.amdhsa_exception_fp_denorm_src 0
		.amdhsa_exception_fp_ieee_div_zero 0
		.amdhsa_exception_fp_ieee_overflow 0
		.amdhsa_exception_fp_ieee_underflow 0
		.amdhsa_exception_fp_ieee_inexact 0
		.amdhsa_exception_int_div_zero 0
	.end_amdhsa_kernel
	.section	.text._Z21shuffle_offset_kernelILj37EiEvPT0_S1_i,"axG",@progbits,_Z21shuffle_offset_kernelILj37EiEvPT0_S1_i,comdat
.Lfunc_end11:
	.size	_Z21shuffle_offset_kernelILj37EiEvPT0_S1_i, .Lfunc_end11-_Z21shuffle_offset_kernelILj37EiEvPT0_S1_i
                                        ; -- End function
	.set _Z21shuffle_offset_kernelILj37EiEvPT0_S1_i.num_vgpr, 5
	.set _Z21shuffle_offset_kernelILj37EiEvPT0_S1_i.num_agpr, 0
	.set _Z21shuffle_offset_kernelILj37EiEvPT0_S1_i.numbered_sgpr, 8
	.set _Z21shuffle_offset_kernelILj37EiEvPT0_S1_i.num_named_barrier, 0
	.set _Z21shuffle_offset_kernelILj37EiEvPT0_S1_i.private_seg_size, 0
	.set _Z21shuffle_offset_kernelILj37EiEvPT0_S1_i.uses_vcc, 1
	.set _Z21shuffle_offset_kernelILj37EiEvPT0_S1_i.uses_flat_scratch, 0
	.set _Z21shuffle_offset_kernelILj37EiEvPT0_S1_i.has_dyn_sized_stack, 0
	.set _Z21shuffle_offset_kernelILj37EiEvPT0_S1_i.has_recursion, 0
	.set _Z21shuffle_offset_kernelILj37EiEvPT0_S1_i.has_indirect_call, 0
	.section	.AMDGPU.csdata,"",@progbits
; Kernel info:
; codeLenInByte = 184
; TotalNumSgprs: 10
; NumVgprs: 5
; ScratchSize: 0
; MemoryBound: 0
; FloatMode: 240
; IeeeMode: 1
; LDSByteSize: 148 bytes/workgroup (compile time only)
; SGPRBlocks: 0
; VGPRBlocks: 0
; NumSGPRsForWavesPerEU: 10
; NumVGPRsForWavesPerEU: 5
; Occupancy: 16
; WaveLimiterHint : 0
; COMPUTE_PGM_RSRC2:SCRATCH_EN: 0
; COMPUTE_PGM_RSRC2:USER_SGPR: 2
; COMPUTE_PGM_RSRC2:TRAP_HANDLER: 0
; COMPUTE_PGM_RSRC2:TGID_X_EN: 1
; COMPUTE_PGM_RSRC2:TGID_Y_EN: 0
; COMPUTE_PGM_RSRC2:TGID_Z_EN: 0
; COMPUTE_PGM_RSRC2:TIDIG_COMP_CNT: 0
	.section	.text._Z21shuffle_offset_kernelILj65EiEvPT0_S1_i,"axG",@progbits,_Z21shuffle_offset_kernelILj65EiEvPT0_S1_i,comdat
	.protected	_Z21shuffle_offset_kernelILj65EiEvPT0_S1_i ; -- Begin function _Z21shuffle_offset_kernelILj65EiEvPT0_S1_i
	.globl	_Z21shuffle_offset_kernelILj65EiEvPT0_S1_i
	.p2align	8
	.type	_Z21shuffle_offset_kernelILj65EiEvPT0_S1_i,@function
_Z21shuffle_offset_kernelILj65EiEvPT0_S1_i: ; @_Z21shuffle_offset_kernelILj65EiEvPT0_S1_i
; %bb.0:
	s_load_b128 s[4:7], s[0:1], 0x0
	v_mad_co_u64_u32 v[1:2], null, 0x41, ttmp9, v[0:1]
	v_mov_b32_e32 v2, 0
	s_load_b32 s0, s[0:1], 0x10
	s_mov_b32 s1, exec_lo
	s_delay_alu instid0(VALU_DEP_1) | instskip(SKIP_1) | instid1(VALU_DEP_1)
	v_lshlrev_b64_e32 v[1:2], 2, v[1:2]
	s_wait_kmcnt 0x0
	v_add_co_u32 v3, vcc_lo, s4, v1
	s_delay_alu instid0(VALU_DEP_1)
	v_add_co_ci_u32_e64 v4, null, s5, v2, vcc_lo
	global_load_b32 v3, v[3:4], off
	v_add_nc_u32_e32 v4, s0, v0
	v_lshlrev_b32_e32 v0, 2, v0
	s_wait_loadcnt 0x0
	ds_store_b32 v0, v3
	s_wait_dscnt 0x0
	s_barrier_signal -1
	s_barrier_wait -1
	global_inv scope:SCOPE_SE
	v_cmpx_gt_u32_e32 0x41, v4
	s_cbranch_execz .LBB12_2
; %bb.1:
	v_lshl_add_u32 v0, s0, 2, v0
	ds_load_b32 v3, v0
	v_add_co_u32 v0, vcc_lo, s6, v1
	s_wait_alu 0xfffd
	v_add_co_ci_u32_e64 v1, null, s7, v2, vcc_lo
	s_wait_dscnt 0x0
	global_store_b32 v[0:1], v3, off
.LBB12_2:
	s_endpgm
	.section	.rodata,"a",@progbits
	.p2align	6, 0x0
	.amdhsa_kernel _Z21shuffle_offset_kernelILj65EiEvPT0_S1_i
		.amdhsa_group_segment_fixed_size 260
		.amdhsa_private_segment_fixed_size 0
		.amdhsa_kernarg_size 20
		.amdhsa_user_sgpr_count 2
		.amdhsa_user_sgpr_dispatch_ptr 0
		.amdhsa_user_sgpr_queue_ptr 0
		.amdhsa_user_sgpr_kernarg_segment_ptr 1
		.amdhsa_user_sgpr_dispatch_id 0
		.amdhsa_user_sgpr_private_segment_size 0
		.amdhsa_wavefront_size32 1
		.amdhsa_uses_dynamic_stack 0
		.amdhsa_enable_private_segment 0
		.amdhsa_system_sgpr_workgroup_id_x 1
		.amdhsa_system_sgpr_workgroup_id_y 0
		.amdhsa_system_sgpr_workgroup_id_z 0
		.amdhsa_system_sgpr_workgroup_info 0
		.amdhsa_system_vgpr_workitem_id 0
		.amdhsa_next_free_vgpr 5
		.amdhsa_next_free_sgpr 8
		.amdhsa_reserve_vcc 1
		.amdhsa_float_round_mode_32 0
		.amdhsa_float_round_mode_16_64 0
		.amdhsa_float_denorm_mode_32 3
		.amdhsa_float_denorm_mode_16_64 3
		.amdhsa_fp16_overflow 0
		.amdhsa_workgroup_processor_mode 1
		.amdhsa_memory_ordered 1
		.amdhsa_forward_progress 1
		.amdhsa_inst_pref_size 2
		.amdhsa_round_robin_scheduling 0
		.amdhsa_exception_fp_ieee_invalid_op 0
		.amdhsa_exception_fp_denorm_src 0
		.amdhsa_exception_fp_ieee_div_zero 0
		.amdhsa_exception_fp_ieee_overflow 0
		.amdhsa_exception_fp_ieee_underflow 0
		.amdhsa_exception_fp_ieee_inexact 0
		.amdhsa_exception_int_div_zero 0
	.end_amdhsa_kernel
	.section	.text._Z21shuffle_offset_kernelILj65EiEvPT0_S1_i,"axG",@progbits,_Z21shuffle_offset_kernelILj65EiEvPT0_S1_i,comdat
.Lfunc_end12:
	.size	_Z21shuffle_offset_kernelILj65EiEvPT0_S1_i, .Lfunc_end12-_Z21shuffle_offset_kernelILj65EiEvPT0_S1_i
                                        ; -- End function
	.set _Z21shuffle_offset_kernelILj65EiEvPT0_S1_i.num_vgpr, 5
	.set _Z21shuffle_offset_kernelILj65EiEvPT0_S1_i.num_agpr, 0
	.set _Z21shuffle_offset_kernelILj65EiEvPT0_S1_i.numbered_sgpr, 8
	.set _Z21shuffle_offset_kernelILj65EiEvPT0_S1_i.num_named_barrier, 0
	.set _Z21shuffle_offset_kernelILj65EiEvPT0_S1_i.private_seg_size, 0
	.set _Z21shuffle_offset_kernelILj65EiEvPT0_S1_i.uses_vcc, 1
	.set _Z21shuffle_offset_kernelILj65EiEvPT0_S1_i.uses_flat_scratch, 0
	.set _Z21shuffle_offset_kernelILj65EiEvPT0_S1_i.has_dyn_sized_stack, 0
	.set _Z21shuffle_offset_kernelILj65EiEvPT0_S1_i.has_recursion, 0
	.set _Z21shuffle_offset_kernelILj65EiEvPT0_S1_i.has_indirect_call, 0
	.section	.AMDGPU.csdata,"",@progbits
; Kernel info:
; codeLenInByte = 192
; TotalNumSgprs: 10
; NumVgprs: 5
; ScratchSize: 0
; MemoryBound: 0
; FloatMode: 240
; IeeeMode: 1
; LDSByteSize: 260 bytes/workgroup (compile time only)
; SGPRBlocks: 0
; VGPRBlocks: 0
; NumSGPRsForWavesPerEU: 10
; NumVGPRsForWavesPerEU: 5
; Occupancy: 16
; WaveLimiterHint : 0
; COMPUTE_PGM_RSRC2:SCRATCH_EN: 0
; COMPUTE_PGM_RSRC2:USER_SGPR: 2
; COMPUTE_PGM_RSRC2:TRAP_HANDLER: 0
; COMPUTE_PGM_RSRC2:TGID_X_EN: 1
; COMPUTE_PGM_RSRC2:TGID_Y_EN: 0
; COMPUTE_PGM_RSRC2:TGID_Z_EN: 0
; COMPUTE_PGM_RSRC2:TIDIG_COMP_CNT: 0
	.section	.text._Z21shuffle_offset_kernelILj512EiEvPT0_S1_i,"axG",@progbits,_Z21shuffle_offset_kernelILj512EiEvPT0_S1_i,comdat
	.protected	_Z21shuffle_offset_kernelILj512EiEvPT0_S1_i ; -- Begin function _Z21shuffle_offset_kernelILj512EiEvPT0_S1_i
	.globl	_Z21shuffle_offset_kernelILj512EiEvPT0_S1_i
	.p2align	8
	.type	_Z21shuffle_offset_kernelILj512EiEvPT0_S1_i,@function
_Z21shuffle_offset_kernelILj512EiEvPT0_S1_i: ; @_Z21shuffle_offset_kernelILj512EiEvPT0_S1_i
; %bb.0:
	s_load_b128 s[4:7], s[0:1], 0x0
	v_mov_b32_e32 v2, 0
	v_lshl_or_b32 v1, ttmp9, 9, v0
	s_load_b32 s0, s[0:1], 0x10
	s_mov_b32 s1, exec_lo
	s_delay_alu instid0(VALU_DEP_1) | instskip(SKIP_1) | instid1(VALU_DEP_1)
	v_lshlrev_b64_e32 v[1:2], 2, v[1:2]
	s_wait_kmcnt 0x0
	v_add_co_u32 v3, vcc_lo, s4, v1
	s_delay_alu instid0(VALU_DEP_1)
	v_add_co_ci_u32_e64 v4, null, s5, v2, vcc_lo
	global_load_b32 v3, v[3:4], off
	v_add_nc_u32_e32 v4, s0, v0
	v_lshlrev_b32_e32 v0, 2, v0
	s_wait_loadcnt 0x0
	ds_store_b32 v0, v3
	s_wait_dscnt 0x0
	s_barrier_signal -1
	s_barrier_wait -1
	global_inv scope:SCOPE_SE
	v_cmpx_gt_u32_e32 0x200, v4
	s_cbranch_execz .LBB13_2
; %bb.1:
	v_lshl_add_u32 v0, s0, 2, v0
	ds_load_b32 v3, v0
	v_add_co_u32 v0, vcc_lo, s6, v1
	s_wait_alu 0xfffd
	v_add_co_ci_u32_e64 v1, null, s7, v2, vcc_lo
	s_wait_dscnt 0x0
	global_store_b32 v[0:1], v3, off
.LBB13_2:
	s_endpgm
	.section	.rodata,"a",@progbits
	.p2align	6, 0x0
	.amdhsa_kernel _Z21shuffle_offset_kernelILj512EiEvPT0_S1_i
		.amdhsa_group_segment_fixed_size 2048
		.amdhsa_private_segment_fixed_size 0
		.amdhsa_kernarg_size 20
		.amdhsa_user_sgpr_count 2
		.amdhsa_user_sgpr_dispatch_ptr 0
		.amdhsa_user_sgpr_queue_ptr 0
		.amdhsa_user_sgpr_kernarg_segment_ptr 1
		.amdhsa_user_sgpr_dispatch_id 0
		.amdhsa_user_sgpr_private_segment_size 0
		.amdhsa_wavefront_size32 1
		.amdhsa_uses_dynamic_stack 0
		.amdhsa_enable_private_segment 0
		.amdhsa_system_sgpr_workgroup_id_x 1
		.amdhsa_system_sgpr_workgroup_id_y 0
		.amdhsa_system_sgpr_workgroup_id_z 0
		.amdhsa_system_sgpr_workgroup_info 0
		.amdhsa_system_vgpr_workitem_id 0
		.amdhsa_next_free_vgpr 5
		.amdhsa_next_free_sgpr 8
		.amdhsa_reserve_vcc 1
		.amdhsa_float_round_mode_32 0
		.amdhsa_float_round_mode_16_64 0
		.amdhsa_float_denorm_mode_32 3
		.amdhsa_float_denorm_mode_16_64 3
		.amdhsa_fp16_overflow 0
		.amdhsa_workgroup_processor_mode 1
		.amdhsa_memory_ordered 1
		.amdhsa_forward_progress 1
		.amdhsa_inst_pref_size 2
		.amdhsa_round_robin_scheduling 0
		.amdhsa_exception_fp_ieee_invalid_op 0
		.amdhsa_exception_fp_denorm_src 0
		.amdhsa_exception_fp_ieee_div_zero 0
		.amdhsa_exception_fp_ieee_overflow 0
		.amdhsa_exception_fp_ieee_underflow 0
		.amdhsa_exception_fp_ieee_inexact 0
		.amdhsa_exception_int_div_zero 0
	.end_amdhsa_kernel
	.section	.text._Z21shuffle_offset_kernelILj512EiEvPT0_S1_i,"axG",@progbits,_Z21shuffle_offset_kernelILj512EiEvPT0_S1_i,comdat
.Lfunc_end13:
	.size	_Z21shuffle_offset_kernelILj512EiEvPT0_S1_i, .Lfunc_end13-_Z21shuffle_offset_kernelILj512EiEvPT0_S1_i
                                        ; -- End function
	.set _Z21shuffle_offset_kernelILj512EiEvPT0_S1_i.num_vgpr, 5
	.set _Z21shuffle_offset_kernelILj512EiEvPT0_S1_i.num_agpr, 0
	.set _Z21shuffle_offset_kernelILj512EiEvPT0_S1_i.numbered_sgpr, 8
	.set _Z21shuffle_offset_kernelILj512EiEvPT0_S1_i.num_named_barrier, 0
	.set _Z21shuffle_offset_kernelILj512EiEvPT0_S1_i.private_seg_size, 0
	.set _Z21shuffle_offset_kernelILj512EiEvPT0_S1_i.uses_vcc, 1
	.set _Z21shuffle_offset_kernelILj512EiEvPT0_S1_i.uses_flat_scratch, 0
	.set _Z21shuffle_offset_kernelILj512EiEvPT0_S1_i.has_dyn_sized_stack, 0
	.set _Z21shuffle_offset_kernelILj512EiEvPT0_S1_i.has_recursion, 0
	.set _Z21shuffle_offset_kernelILj512EiEvPT0_S1_i.has_indirect_call, 0
	.section	.AMDGPU.csdata,"",@progbits
; Kernel info:
; codeLenInByte = 188
; TotalNumSgprs: 10
; NumVgprs: 5
; ScratchSize: 0
; MemoryBound: 0
; FloatMode: 240
; IeeeMode: 1
; LDSByteSize: 2048 bytes/workgroup (compile time only)
; SGPRBlocks: 0
; VGPRBlocks: 0
; NumSGPRsForWavesPerEU: 10
; NumVGPRsForWavesPerEU: 5
; Occupancy: 16
; WaveLimiterHint : 0
; COMPUTE_PGM_RSRC2:SCRATCH_EN: 0
; COMPUTE_PGM_RSRC2:USER_SGPR: 2
; COMPUTE_PGM_RSRC2:TRAP_HANDLER: 0
; COMPUTE_PGM_RSRC2:TGID_X_EN: 1
; COMPUTE_PGM_RSRC2:TGID_Y_EN: 0
; COMPUTE_PGM_RSRC2:TGID_Z_EN: 0
; COMPUTE_PGM_RSRC2:TIDIG_COMP_CNT: 0
	.section	.text._Z21shuffle_offset_kernelILj256EiEvPT0_S1_i,"axG",@progbits,_Z21shuffle_offset_kernelILj256EiEvPT0_S1_i,comdat
	.protected	_Z21shuffle_offset_kernelILj256EiEvPT0_S1_i ; -- Begin function _Z21shuffle_offset_kernelILj256EiEvPT0_S1_i
	.globl	_Z21shuffle_offset_kernelILj256EiEvPT0_S1_i
	.p2align	8
	.type	_Z21shuffle_offset_kernelILj256EiEvPT0_S1_i,@function
_Z21shuffle_offset_kernelILj256EiEvPT0_S1_i: ; @_Z21shuffle_offset_kernelILj256EiEvPT0_S1_i
; %bb.0:
	s_load_b128 s[4:7], s[0:1], 0x0
	v_mov_b32_e32 v2, 0
	v_lshl_or_b32 v1, ttmp9, 8, v0
	s_load_b32 s0, s[0:1], 0x10
	s_mov_b32 s1, exec_lo
	s_delay_alu instid0(VALU_DEP_1) | instskip(SKIP_1) | instid1(VALU_DEP_1)
	v_lshlrev_b64_e32 v[1:2], 2, v[1:2]
	s_wait_kmcnt 0x0
	v_add_co_u32 v3, vcc_lo, s4, v1
	s_delay_alu instid0(VALU_DEP_1)
	v_add_co_ci_u32_e64 v4, null, s5, v2, vcc_lo
	global_load_b32 v3, v[3:4], off
	v_add_nc_u32_e32 v4, s0, v0
	v_lshlrev_b32_e32 v0, 2, v0
	s_wait_loadcnt 0x0
	ds_store_b32 v0, v3
	s_wait_dscnt 0x0
	s_barrier_signal -1
	s_barrier_wait -1
	global_inv scope:SCOPE_SE
	v_cmpx_gt_u32_e32 0x100, v4
	s_cbranch_execz .LBB14_2
; %bb.1:
	v_lshl_add_u32 v0, s0, 2, v0
	ds_load_b32 v3, v0
	v_add_co_u32 v0, vcc_lo, s6, v1
	s_wait_alu 0xfffd
	v_add_co_ci_u32_e64 v1, null, s7, v2, vcc_lo
	s_wait_dscnt 0x0
	global_store_b32 v[0:1], v3, off
.LBB14_2:
	s_endpgm
	.section	.rodata,"a",@progbits
	.p2align	6, 0x0
	.amdhsa_kernel _Z21shuffle_offset_kernelILj256EiEvPT0_S1_i
		.amdhsa_group_segment_fixed_size 1024
		.amdhsa_private_segment_fixed_size 0
		.amdhsa_kernarg_size 20
		.amdhsa_user_sgpr_count 2
		.amdhsa_user_sgpr_dispatch_ptr 0
		.amdhsa_user_sgpr_queue_ptr 0
		.amdhsa_user_sgpr_kernarg_segment_ptr 1
		.amdhsa_user_sgpr_dispatch_id 0
		.amdhsa_user_sgpr_private_segment_size 0
		.amdhsa_wavefront_size32 1
		.amdhsa_uses_dynamic_stack 0
		.amdhsa_enable_private_segment 0
		.amdhsa_system_sgpr_workgroup_id_x 1
		.amdhsa_system_sgpr_workgroup_id_y 0
		.amdhsa_system_sgpr_workgroup_id_z 0
		.amdhsa_system_sgpr_workgroup_info 0
		.amdhsa_system_vgpr_workitem_id 0
		.amdhsa_next_free_vgpr 5
		.amdhsa_next_free_sgpr 8
		.amdhsa_reserve_vcc 1
		.amdhsa_float_round_mode_32 0
		.amdhsa_float_round_mode_16_64 0
		.amdhsa_float_denorm_mode_32 3
		.amdhsa_float_denorm_mode_16_64 3
		.amdhsa_fp16_overflow 0
		.amdhsa_workgroup_processor_mode 1
		.amdhsa_memory_ordered 1
		.amdhsa_forward_progress 1
		.amdhsa_inst_pref_size 2
		.amdhsa_round_robin_scheduling 0
		.amdhsa_exception_fp_ieee_invalid_op 0
		.amdhsa_exception_fp_denorm_src 0
		.amdhsa_exception_fp_ieee_div_zero 0
		.amdhsa_exception_fp_ieee_overflow 0
		.amdhsa_exception_fp_ieee_underflow 0
		.amdhsa_exception_fp_ieee_inexact 0
		.amdhsa_exception_int_div_zero 0
	.end_amdhsa_kernel
	.section	.text._Z21shuffle_offset_kernelILj256EiEvPT0_S1_i,"axG",@progbits,_Z21shuffle_offset_kernelILj256EiEvPT0_S1_i,comdat
.Lfunc_end14:
	.size	_Z21shuffle_offset_kernelILj256EiEvPT0_S1_i, .Lfunc_end14-_Z21shuffle_offset_kernelILj256EiEvPT0_S1_i
                                        ; -- End function
	.set _Z21shuffle_offset_kernelILj256EiEvPT0_S1_i.num_vgpr, 5
	.set _Z21shuffle_offset_kernelILj256EiEvPT0_S1_i.num_agpr, 0
	.set _Z21shuffle_offset_kernelILj256EiEvPT0_S1_i.numbered_sgpr, 8
	.set _Z21shuffle_offset_kernelILj256EiEvPT0_S1_i.num_named_barrier, 0
	.set _Z21shuffle_offset_kernelILj256EiEvPT0_S1_i.private_seg_size, 0
	.set _Z21shuffle_offset_kernelILj256EiEvPT0_S1_i.uses_vcc, 1
	.set _Z21shuffle_offset_kernelILj256EiEvPT0_S1_i.uses_flat_scratch, 0
	.set _Z21shuffle_offset_kernelILj256EiEvPT0_S1_i.has_dyn_sized_stack, 0
	.set _Z21shuffle_offset_kernelILj256EiEvPT0_S1_i.has_recursion, 0
	.set _Z21shuffle_offset_kernelILj256EiEvPT0_S1_i.has_indirect_call, 0
	.section	.AMDGPU.csdata,"",@progbits
; Kernel info:
; codeLenInByte = 188
; TotalNumSgprs: 10
; NumVgprs: 5
; ScratchSize: 0
; MemoryBound: 0
; FloatMode: 240
; IeeeMode: 1
; LDSByteSize: 1024 bytes/workgroup (compile time only)
; SGPRBlocks: 0
; VGPRBlocks: 0
; NumSGPRsForWavesPerEU: 10
; NumVGPRsForWavesPerEU: 5
; Occupancy: 16
; WaveLimiterHint : 0
; COMPUTE_PGM_RSRC2:SCRATCH_EN: 0
; COMPUTE_PGM_RSRC2:USER_SGPR: 2
; COMPUTE_PGM_RSRC2:TRAP_HANDLER: 0
; COMPUTE_PGM_RSRC2:TGID_X_EN: 1
; COMPUTE_PGM_RSRC2:TGID_Y_EN: 0
; COMPUTE_PGM_RSRC2:TGID_Z_EN: 0
; COMPUTE_PGM_RSRC2:TIDIG_COMP_CNT: 0
	.section	.text._Z21shuffle_offset_kernelILj128EiEvPT0_S1_i,"axG",@progbits,_Z21shuffle_offset_kernelILj128EiEvPT0_S1_i,comdat
	.protected	_Z21shuffle_offset_kernelILj128EiEvPT0_S1_i ; -- Begin function _Z21shuffle_offset_kernelILj128EiEvPT0_S1_i
	.globl	_Z21shuffle_offset_kernelILj128EiEvPT0_S1_i
	.p2align	8
	.type	_Z21shuffle_offset_kernelILj128EiEvPT0_S1_i,@function
_Z21shuffle_offset_kernelILj128EiEvPT0_S1_i: ; @_Z21shuffle_offset_kernelILj128EiEvPT0_S1_i
; %bb.0:
	s_load_b128 s[4:7], s[0:1], 0x0
	v_mov_b32_e32 v2, 0
	v_lshl_or_b32 v1, ttmp9, 7, v0
	s_load_b32 s0, s[0:1], 0x10
	s_mov_b32 s1, exec_lo
	s_delay_alu instid0(VALU_DEP_1) | instskip(SKIP_1) | instid1(VALU_DEP_1)
	v_lshlrev_b64_e32 v[1:2], 2, v[1:2]
	s_wait_kmcnt 0x0
	v_add_co_u32 v3, vcc_lo, s4, v1
	s_delay_alu instid0(VALU_DEP_1)
	v_add_co_ci_u32_e64 v4, null, s5, v2, vcc_lo
	global_load_b32 v3, v[3:4], off
	v_add_nc_u32_e32 v4, s0, v0
	v_lshlrev_b32_e32 v0, 2, v0
	s_wait_loadcnt 0x0
	ds_store_b32 v0, v3
	s_wait_dscnt 0x0
	s_barrier_signal -1
	s_barrier_wait -1
	global_inv scope:SCOPE_SE
	v_cmpx_gt_u32_e32 0x80, v4
	s_cbranch_execz .LBB15_2
; %bb.1:
	v_lshl_add_u32 v0, s0, 2, v0
	ds_load_b32 v3, v0
	v_add_co_u32 v0, vcc_lo, s6, v1
	s_wait_alu 0xfffd
	v_add_co_ci_u32_e64 v1, null, s7, v2, vcc_lo
	s_wait_dscnt 0x0
	global_store_b32 v[0:1], v3, off
.LBB15_2:
	s_endpgm
	.section	.rodata,"a",@progbits
	.p2align	6, 0x0
	.amdhsa_kernel _Z21shuffle_offset_kernelILj128EiEvPT0_S1_i
		.amdhsa_group_segment_fixed_size 512
		.amdhsa_private_segment_fixed_size 0
		.amdhsa_kernarg_size 20
		.amdhsa_user_sgpr_count 2
		.amdhsa_user_sgpr_dispatch_ptr 0
		.amdhsa_user_sgpr_queue_ptr 0
		.amdhsa_user_sgpr_kernarg_segment_ptr 1
		.amdhsa_user_sgpr_dispatch_id 0
		.amdhsa_user_sgpr_private_segment_size 0
		.amdhsa_wavefront_size32 1
		.amdhsa_uses_dynamic_stack 0
		.amdhsa_enable_private_segment 0
		.amdhsa_system_sgpr_workgroup_id_x 1
		.amdhsa_system_sgpr_workgroup_id_y 0
		.amdhsa_system_sgpr_workgroup_id_z 0
		.amdhsa_system_sgpr_workgroup_info 0
		.amdhsa_system_vgpr_workitem_id 0
		.amdhsa_next_free_vgpr 5
		.amdhsa_next_free_sgpr 8
		.amdhsa_reserve_vcc 1
		.amdhsa_float_round_mode_32 0
		.amdhsa_float_round_mode_16_64 0
		.amdhsa_float_denorm_mode_32 3
		.amdhsa_float_denorm_mode_16_64 3
		.amdhsa_fp16_overflow 0
		.amdhsa_workgroup_processor_mode 1
		.amdhsa_memory_ordered 1
		.amdhsa_forward_progress 1
		.amdhsa_inst_pref_size 2
		.amdhsa_round_robin_scheduling 0
		.amdhsa_exception_fp_ieee_invalid_op 0
		.amdhsa_exception_fp_denorm_src 0
		.amdhsa_exception_fp_ieee_div_zero 0
		.amdhsa_exception_fp_ieee_overflow 0
		.amdhsa_exception_fp_ieee_underflow 0
		.amdhsa_exception_fp_ieee_inexact 0
		.amdhsa_exception_int_div_zero 0
	.end_amdhsa_kernel
	.section	.text._Z21shuffle_offset_kernelILj128EiEvPT0_S1_i,"axG",@progbits,_Z21shuffle_offset_kernelILj128EiEvPT0_S1_i,comdat
.Lfunc_end15:
	.size	_Z21shuffle_offset_kernelILj128EiEvPT0_S1_i, .Lfunc_end15-_Z21shuffle_offset_kernelILj128EiEvPT0_S1_i
                                        ; -- End function
	.set _Z21shuffle_offset_kernelILj128EiEvPT0_S1_i.num_vgpr, 5
	.set _Z21shuffle_offset_kernelILj128EiEvPT0_S1_i.num_agpr, 0
	.set _Z21shuffle_offset_kernelILj128EiEvPT0_S1_i.numbered_sgpr, 8
	.set _Z21shuffle_offset_kernelILj128EiEvPT0_S1_i.num_named_barrier, 0
	.set _Z21shuffle_offset_kernelILj128EiEvPT0_S1_i.private_seg_size, 0
	.set _Z21shuffle_offset_kernelILj128EiEvPT0_S1_i.uses_vcc, 1
	.set _Z21shuffle_offset_kernelILj128EiEvPT0_S1_i.uses_flat_scratch, 0
	.set _Z21shuffle_offset_kernelILj128EiEvPT0_S1_i.has_dyn_sized_stack, 0
	.set _Z21shuffle_offset_kernelILj128EiEvPT0_S1_i.has_recursion, 0
	.set _Z21shuffle_offset_kernelILj128EiEvPT0_S1_i.has_indirect_call, 0
	.section	.AMDGPU.csdata,"",@progbits
; Kernel info:
; codeLenInByte = 188
; TotalNumSgprs: 10
; NumVgprs: 5
; ScratchSize: 0
; MemoryBound: 0
; FloatMode: 240
; IeeeMode: 1
; LDSByteSize: 512 bytes/workgroup (compile time only)
; SGPRBlocks: 0
; VGPRBlocks: 0
; NumSGPRsForWavesPerEU: 10
; NumVGPRsForWavesPerEU: 5
; Occupancy: 16
; WaveLimiterHint : 0
; COMPUTE_PGM_RSRC2:SCRATCH_EN: 0
; COMPUTE_PGM_RSRC2:USER_SGPR: 2
; COMPUTE_PGM_RSRC2:TRAP_HANDLER: 0
; COMPUTE_PGM_RSRC2:TGID_X_EN: 1
; COMPUTE_PGM_RSRC2:TGID_Y_EN: 0
; COMPUTE_PGM_RSRC2:TGID_Z_EN: 0
; COMPUTE_PGM_RSRC2:TIDIG_COMP_CNT: 0
	.section	.text._Z21shuffle_offset_kernelILj64EiEvPT0_S1_i,"axG",@progbits,_Z21shuffle_offset_kernelILj64EiEvPT0_S1_i,comdat
	.protected	_Z21shuffle_offset_kernelILj64EiEvPT0_S1_i ; -- Begin function _Z21shuffle_offset_kernelILj64EiEvPT0_S1_i
	.globl	_Z21shuffle_offset_kernelILj64EiEvPT0_S1_i
	.p2align	8
	.type	_Z21shuffle_offset_kernelILj64EiEvPT0_S1_i,@function
_Z21shuffle_offset_kernelILj64EiEvPT0_S1_i: ; @_Z21shuffle_offset_kernelILj64EiEvPT0_S1_i
; %bb.0:
	s_load_b128 s[4:7], s[0:1], 0x0
	v_mov_b32_e32 v2, 0
	v_lshl_or_b32 v1, ttmp9, 6, v0
	s_load_b32 s0, s[0:1], 0x10
	s_mov_b32 s1, exec_lo
	s_delay_alu instid0(VALU_DEP_1) | instskip(SKIP_1) | instid1(VALU_DEP_1)
	v_lshlrev_b64_e32 v[1:2], 2, v[1:2]
	s_wait_kmcnt 0x0
	v_add_co_u32 v3, vcc_lo, s4, v1
	s_delay_alu instid0(VALU_DEP_1)
	v_add_co_ci_u32_e64 v4, null, s5, v2, vcc_lo
	global_load_b32 v3, v[3:4], off
	v_add_nc_u32_e32 v4, s0, v0
	v_lshlrev_b32_e32 v0, 2, v0
	s_wait_loadcnt 0x0
	ds_store_b32 v0, v3
	s_wait_dscnt 0x0
	s_barrier_signal -1
	s_barrier_wait -1
	global_inv scope:SCOPE_SE
	v_cmpx_gt_u32_e32 64, v4
	s_cbranch_execz .LBB16_2
; %bb.1:
	v_lshl_add_u32 v0, s0, 2, v0
	ds_load_b32 v3, v0
	v_add_co_u32 v0, vcc_lo, s6, v1
	s_wait_alu 0xfffd
	v_add_co_ci_u32_e64 v1, null, s7, v2, vcc_lo
	s_wait_dscnt 0x0
	global_store_b32 v[0:1], v3, off
.LBB16_2:
	s_endpgm
	.section	.rodata,"a",@progbits
	.p2align	6, 0x0
	.amdhsa_kernel _Z21shuffle_offset_kernelILj64EiEvPT0_S1_i
		.amdhsa_group_segment_fixed_size 256
		.amdhsa_private_segment_fixed_size 0
		.amdhsa_kernarg_size 20
		.amdhsa_user_sgpr_count 2
		.amdhsa_user_sgpr_dispatch_ptr 0
		.amdhsa_user_sgpr_queue_ptr 0
		.amdhsa_user_sgpr_kernarg_segment_ptr 1
		.amdhsa_user_sgpr_dispatch_id 0
		.amdhsa_user_sgpr_private_segment_size 0
		.amdhsa_wavefront_size32 1
		.amdhsa_uses_dynamic_stack 0
		.amdhsa_enable_private_segment 0
		.amdhsa_system_sgpr_workgroup_id_x 1
		.amdhsa_system_sgpr_workgroup_id_y 0
		.amdhsa_system_sgpr_workgroup_id_z 0
		.amdhsa_system_sgpr_workgroup_info 0
		.amdhsa_system_vgpr_workitem_id 0
		.amdhsa_next_free_vgpr 5
		.amdhsa_next_free_sgpr 8
		.amdhsa_reserve_vcc 1
		.amdhsa_float_round_mode_32 0
		.amdhsa_float_round_mode_16_64 0
		.amdhsa_float_denorm_mode_32 3
		.amdhsa_float_denorm_mode_16_64 3
		.amdhsa_fp16_overflow 0
		.amdhsa_workgroup_processor_mode 1
		.amdhsa_memory_ordered 1
		.amdhsa_forward_progress 1
		.amdhsa_inst_pref_size 2
		.amdhsa_round_robin_scheduling 0
		.amdhsa_exception_fp_ieee_invalid_op 0
		.amdhsa_exception_fp_denorm_src 0
		.amdhsa_exception_fp_ieee_div_zero 0
		.amdhsa_exception_fp_ieee_overflow 0
		.amdhsa_exception_fp_ieee_underflow 0
		.amdhsa_exception_fp_ieee_inexact 0
		.amdhsa_exception_int_div_zero 0
	.end_amdhsa_kernel
	.section	.text._Z21shuffle_offset_kernelILj64EiEvPT0_S1_i,"axG",@progbits,_Z21shuffle_offset_kernelILj64EiEvPT0_S1_i,comdat
.Lfunc_end16:
	.size	_Z21shuffle_offset_kernelILj64EiEvPT0_S1_i, .Lfunc_end16-_Z21shuffle_offset_kernelILj64EiEvPT0_S1_i
                                        ; -- End function
	.set _Z21shuffle_offset_kernelILj64EiEvPT0_S1_i.num_vgpr, 5
	.set _Z21shuffle_offset_kernelILj64EiEvPT0_S1_i.num_agpr, 0
	.set _Z21shuffle_offset_kernelILj64EiEvPT0_S1_i.numbered_sgpr, 8
	.set _Z21shuffle_offset_kernelILj64EiEvPT0_S1_i.num_named_barrier, 0
	.set _Z21shuffle_offset_kernelILj64EiEvPT0_S1_i.private_seg_size, 0
	.set _Z21shuffle_offset_kernelILj64EiEvPT0_S1_i.uses_vcc, 1
	.set _Z21shuffle_offset_kernelILj64EiEvPT0_S1_i.uses_flat_scratch, 0
	.set _Z21shuffle_offset_kernelILj64EiEvPT0_S1_i.has_dyn_sized_stack, 0
	.set _Z21shuffle_offset_kernelILj64EiEvPT0_S1_i.has_recursion, 0
	.set _Z21shuffle_offset_kernelILj64EiEvPT0_S1_i.has_indirect_call, 0
	.section	.AMDGPU.csdata,"",@progbits
; Kernel info:
; codeLenInByte = 184
; TotalNumSgprs: 10
; NumVgprs: 5
; ScratchSize: 0
; MemoryBound: 0
; FloatMode: 240
; IeeeMode: 1
; LDSByteSize: 256 bytes/workgroup (compile time only)
; SGPRBlocks: 0
; VGPRBlocks: 0
; NumSGPRsForWavesPerEU: 10
; NumVGPRsForWavesPerEU: 5
; Occupancy: 16
; WaveLimiterHint : 0
; COMPUTE_PGM_RSRC2:SCRATCH_EN: 0
; COMPUTE_PGM_RSRC2:USER_SGPR: 2
; COMPUTE_PGM_RSRC2:TRAP_HANDLER: 0
; COMPUTE_PGM_RSRC2:TGID_X_EN: 1
; COMPUTE_PGM_RSRC2:TGID_Y_EN: 0
; COMPUTE_PGM_RSRC2:TGID_Z_EN: 0
; COMPUTE_PGM_RSRC2:TIDIG_COMP_CNT: 0
	.section	.text._Z21shuffle_rotate_kernelILj32E12hip_bfloat16EvPT0_S2_i,"axG",@progbits,_Z21shuffle_rotate_kernelILj32E12hip_bfloat16EvPT0_S2_i,comdat
	.protected	_Z21shuffle_rotate_kernelILj32E12hip_bfloat16EvPT0_S2_i ; -- Begin function _Z21shuffle_rotate_kernelILj32E12hip_bfloat16EvPT0_S2_i
	.globl	_Z21shuffle_rotate_kernelILj32E12hip_bfloat16EvPT0_S2_i
	.p2align	8
	.type	_Z21shuffle_rotate_kernelILj32E12hip_bfloat16EvPT0_S2_i,@function
_Z21shuffle_rotate_kernelILj32E12hip_bfloat16EvPT0_S2_i: ; @_Z21shuffle_rotate_kernelILj32E12hip_bfloat16EvPT0_S2_i
; %bb.0:
	s_load_b128 s[4:7], s[0:1], 0x0
	v_mov_b32_e32 v2, 0
	v_lshl_or_b32 v1, ttmp9, 5, v0
	s_load_b32 s0, s[0:1], 0x10
	s_delay_alu instid0(VALU_DEP_1) | instskip(SKIP_1) | instid1(VALU_DEP_1)
	v_lshlrev_b64_e32 v[1:2], 1, v[1:2]
	s_wait_kmcnt 0x0
	v_add_co_u32 v3, vcc_lo, s4, v1
	s_delay_alu instid0(VALU_DEP_1) | instskip(SKIP_4) | instid1(VALU_DEP_2)
	v_add_co_ci_u32_e64 v4, null, s5, v2, vcc_lo
	global_load_u16 v3, v[3:4], off
	v_add_nc_u32_e32 v4, s0, v0
	v_lshlrev_b32_e32 v0, 1, v0
	s_lshl_b32 s0, s0, 1
	v_lshrrev_b32_e32 v5, 26, v4
	v_cmp_gt_i32_e32 vcc_lo, 32, v4
	s_delay_alu instid0(VALU_DEP_2) | instskip(SKIP_1) | instid1(VALU_DEP_1)
	v_and_b32_e32 v5, 32, v5
	s_wait_alu 0xfffd
	v_cndmask_b32_e32 v4, 0xffffffe0, v5, vcc_lo
	s_delay_alu instid0(VALU_DEP_1) | instskip(SKIP_1) | instid1(VALU_DEP_1)
	v_lshlrev_b32_e32 v4, 1, v4
	s_wait_alu 0xfffe
	v_add3_u32 v4, v0, s0, v4
	s_wait_loadcnt 0x0
	ds_store_b16 v0, v3
	s_wait_dscnt 0x0
	; wave barrier
	global_inv scope:SCOPE_SE
	ds_load_u16 v3, v4
	v_add_co_u32 v0, vcc_lo, s6, v1
	s_wait_alu 0xfffd
	v_add_co_ci_u32_e64 v1, null, s7, v2, vcc_lo
	s_wait_dscnt 0x0
	global_store_b16 v[0:1], v3, off
	s_endpgm
	.section	.rodata,"a",@progbits
	.p2align	6, 0x0
	.amdhsa_kernel _Z21shuffle_rotate_kernelILj32E12hip_bfloat16EvPT0_S2_i
		.amdhsa_group_segment_fixed_size 64
		.amdhsa_private_segment_fixed_size 0
		.amdhsa_kernarg_size 20
		.amdhsa_user_sgpr_count 2
		.amdhsa_user_sgpr_dispatch_ptr 0
		.amdhsa_user_sgpr_queue_ptr 0
		.amdhsa_user_sgpr_kernarg_segment_ptr 1
		.amdhsa_user_sgpr_dispatch_id 0
		.amdhsa_user_sgpr_private_segment_size 0
		.amdhsa_wavefront_size32 1
		.amdhsa_uses_dynamic_stack 0
		.amdhsa_enable_private_segment 0
		.amdhsa_system_sgpr_workgroup_id_x 1
		.amdhsa_system_sgpr_workgroup_id_y 0
		.amdhsa_system_sgpr_workgroup_id_z 0
		.amdhsa_system_sgpr_workgroup_info 0
		.amdhsa_system_vgpr_workitem_id 0
		.amdhsa_next_free_vgpr 6
		.amdhsa_next_free_sgpr 8
		.amdhsa_reserve_vcc 1
		.amdhsa_float_round_mode_32 0
		.amdhsa_float_round_mode_16_64 0
		.amdhsa_float_denorm_mode_32 3
		.amdhsa_float_denorm_mode_16_64 3
		.amdhsa_fp16_overflow 0
		.amdhsa_workgroup_processor_mode 1
		.amdhsa_memory_ordered 1
		.amdhsa_forward_progress 1
		.amdhsa_inst_pref_size 2
		.amdhsa_round_robin_scheduling 0
		.amdhsa_exception_fp_ieee_invalid_op 0
		.amdhsa_exception_fp_denorm_src 0
		.amdhsa_exception_fp_ieee_div_zero 0
		.amdhsa_exception_fp_ieee_overflow 0
		.amdhsa_exception_fp_ieee_underflow 0
		.amdhsa_exception_fp_ieee_inexact 0
		.amdhsa_exception_int_div_zero 0
	.end_amdhsa_kernel
	.section	.text._Z21shuffle_rotate_kernelILj32E12hip_bfloat16EvPT0_S2_i,"axG",@progbits,_Z21shuffle_rotate_kernelILj32E12hip_bfloat16EvPT0_S2_i,comdat
.Lfunc_end17:
	.size	_Z21shuffle_rotate_kernelILj32E12hip_bfloat16EvPT0_S2_i, .Lfunc_end17-_Z21shuffle_rotate_kernelILj32E12hip_bfloat16EvPT0_S2_i
                                        ; -- End function
	.set _Z21shuffle_rotate_kernelILj32E12hip_bfloat16EvPT0_S2_i.num_vgpr, 6
	.set _Z21shuffle_rotate_kernelILj32E12hip_bfloat16EvPT0_S2_i.num_agpr, 0
	.set _Z21shuffle_rotate_kernelILj32E12hip_bfloat16EvPT0_S2_i.numbered_sgpr, 8
	.set _Z21shuffle_rotate_kernelILj32E12hip_bfloat16EvPT0_S2_i.num_named_barrier, 0
	.set _Z21shuffle_rotate_kernelILj32E12hip_bfloat16EvPT0_S2_i.private_seg_size, 0
	.set _Z21shuffle_rotate_kernelILj32E12hip_bfloat16EvPT0_S2_i.uses_vcc, 1
	.set _Z21shuffle_rotate_kernelILj32E12hip_bfloat16EvPT0_S2_i.uses_flat_scratch, 0
	.set _Z21shuffle_rotate_kernelILj32E12hip_bfloat16EvPT0_S2_i.has_dyn_sized_stack, 0
	.set _Z21shuffle_rotate_kernelILj32E12hip_bfloat16EvPT0_S2_i.has_recursion, 0
	.set _Z21shuffle_rotate_kernelILj32E12hip_bfloat16EvPT0_S2_i.has_indirect_call, 0
	.section	.AMDGPU.csdata,"",@progbits
; Kernel info:
; codeLenInByte = 208
; TotalNumSgprs: 10
; NumVgprs: 6
; ScratchSize: 0
; MemoryBound: 0
; FloatMode: 240
; IeeeMode: 1
; LDSByteSize: 64 bytes/workgroup (compile time only)
; SGPRBlocks: 0
; VGPRBlocks: 0
; NumSGPRsForWavesPerEU: 10
; NumVGPRsForWavesPerEU: 6
; Occupancy: 16
; WaveLimiterHint : 0
; COMPUTE_PGM_RSRC2:SCRATCH_EN: 0
; COMPUTE_PGM_RSRC2:USER_SGPR: 2
; COMPUTE_PGM_RSRC2:TRAP_HANDLER: 0
; COMPUTE_PGM_RSRC2:TGID_X_EN: 1
; COMPUTE_PGM_RSRC2:TGID_Y_EN: 0
; COMPUTE_PGM_RSRC2:TGID_Z_EN: 0
; COMPUTE_PGM_RSRC2:TIDIG_COMP_CNT: 0
	.section	.text._Z21shuffle_rotate_kernelILj32E6__halfEvPT0_S2_i,"axG",@progbits,_Z21shuffle_rotate_kernelILj32E6__halfEvPT0_S2_i,comdat
	.protected	_Z21shuffle_rotate_kernelILj32E6__halfEvPT0_S2_i ; -- Begin function _Z21shuffle_rotate_kernelILj32E6__halfEvPT0_S2_i
	.globl	_Z21shuffle_rotate_kernelILj32E6__halfEvPT0_S2_i
	.p2align	8
	.type	_Z21shuffle_rotate_kernelILj32E6__halfEvPT0_S2_i,@function
_Z21shuffle_rotate_kernelILj32E6__halfEvPT0_S2_i: ; @_Z21shuffle_rotate_kernelILj32E6__halfEvPT0_S2_i
; %bb.0:
	s_load_b128 s[4:7], s[0:1], 0x0
	v_mov_b32_e32 v2, 0
	v_lshl_or_b32 v1, ttmp9, 5, v0
	s_load_b32 s0, s[0:1], 0x10
	s_delay_alu instid0(VALU_DEP_1) | instskip(SKIP_1) | instid1(VALU_DEP_1)
	v_lshlrev_b64_e32 v[1:2], 1, v[1:2]
	s_wait_kmcnt 0x0
	v_add_co_u32 v3, vcc_lo, s4, v1
	s_delay_alu instid0(VALU_DEP_1) | instskip(SKIP_4) | instid1(VALU_DEP_2)
	v_add_co_ci_u32_e64 v4, null, s5, v2, vcc_lo
	global_load_u16 v3, v[3:4], off
	v_add_nc_u32_e32 v4, s0, v0
	v_lshlrev_b32_e32 v0, 1, v0
	s_lshl_b32 s0, s0, 1
	v_lshrrev_b32_e32 v5, 26, v4
	v_cmp_gt_i32_e32 vcc_lo, 32, v4
	s_delay_alu instid0(VALU_DEP_2) | instskip(SKIP_1) | instid1(VALU_DEP_1)
	v_and_b32_e32 v5, 32, v5
	s_wait_alu 0xfffd
	v_cndmask_b32_e32 v4, 0xffffffe0, v5, vcc_lo
	s_delay_alu instid0(VALU_DEP_1) | instskip(SKIP_1) | instid1(VALU_DEP_1)
	v_lshlrev_b32_e32 v4, 1, v4
	s_wait_alu 0xfffe
	v_add3_u32 v4, v0, s0, v4
	s_wait_loadcnt 0x0
	ds_store_b16 v0, v3
	s_wait_dscnt 0x0
	; wave barrier
	global_inv scope:SCOPE_SE
	ds_load_u16 v3, v4
	v_add_co_u32 v0, vcc_lo, s6, v1
	s_wait_alu 0xfffd
	v_add_co_ci_u32_e64 v1, null, s7, v2, vcc_lo
	s_wait_dscnt 0x0
	global_store_b16 v[0:1], v3, off
	s_endpgm
	.section	.rodata,"a",@progbits
	.p2align	6, 0x0
	.amdhsa_kernel _Z21shuffle_rotate_kernelILj32E6__halfEvPT0_S2_i
		.amdhsa_group_segment_fixed_size 64
		.amdhsa_private_segment_fixed_size 0
		.amdhsa_kernarg_size 20
		.amdhsa_user_sgpr_count 2
		.amdhsa_user_sgpr_dispatch_ptr 0
		.amdhsa_user_sgpr_queue_ptr 0
		.amdhsa_user_sgpr_kernarg_segment_ptr 1
		.amdhsa_user_sgpr_dispatch_id 0
		.amdhsa_user_sgpr_private_segment_size 0
		.amdhsa_wavefront_size32 1
		.amdhsa_uses_dynamic_stack 0
		.amdhsa_enable_private_segment 0
		.amdhsa_system_sgpr_workgroup_id_x 1
		.amdhsa_system_sgpr_workgroup_id_y 0
		.amdhsa_system_sgpr_workgroup_id_z 0
		.amdhsa_system_sgpr_workgroup_info 0
		.amdhsa_system_vgpr_workitem_id 0
		.amdhsa_next_free_vgpr 6
		.amdhsa_next_free_sgpr 8
		.amdhsa_reserve_vcc 1
		.amdhsa_float_round_mode_32 0
		.amdhsa_float_round_mode_16_64 0
		.amdhsa_float_denorm_mode_32 3
		.amdhsa_float_denorm_mode_16_64 3
		.amdhsa_fp16_overflow 0
		.amdhsa_workgroup_processor_mode 1
		.amdhsa_memory_ordered 1
		.amdhsa_forward_progress 1
		.amdhsa_inst_pref_size 2
		.amdhsa_round_robin_scheduling 0
		.amdhsa_exception_fp_ieee_invalid_op 0
		.amdhsa_exception_fp_denorm_src 0
		.amdhsa_exception_fp_ieee_div_zero 0
		.amdhsa_exception_fp_ieee_overflow 0
		.amdhsa_exception_fp_ieee_underflow 0
		.amdhsa_exception_fp_ieee_inexact 0
		.amdhsa_exception_int_div_zero 0
	.end_amdhsa_kernel
	.section	.text._Z21shuffle_rotate_kernelILj32E6__halfEvPT0_S2_i,"axG",@progbits,_Z21shuffle_rotate_kernelILj32E6__halfEvPT0_S2_i,comdat
.Lfunc_end18:
	.size	_Z21shuffle_rotate_kernelILj32E6__halfEvPT0_S2_i, .Lfunc_end18-_Z21shuffle_rotate_kernelILj32E6__halfEvPT0_S2_i
                                        ; -- End function
	.set _Z21shuffle_rotate_kernelILj32E6__halfEvPT0_S2_i.num_vgpr, 6
	.set _Z21shuffle_rotate_kernelILj32E6__halfEvPT0_S2_i.num_agpr, 0
	.set _Z21shuffle_rotate_kernelILj32E6__halfEvPT0_S2_i.numbered_sgpr, 8
	.set _Z21shuffle_rotate_kernelILj32E6__halfEvPT0_S2_i.num_named_barrier, 0
	.set _Z21shuffle_rotate_kernelILj32E6__halfEvPT0_S2_i.private_seg_size, 0
	.set _Z21shuffle_rotate_kernelILj32E6__halfEvPT0_S2_i.uses_vcc, 1
	.set _Z21shuffle_rotate_kernelILj32E6__halfEvPT0_S2_i.uses_flat_scratch, 0
	.set _Z21shuffle_rotate_kernelILj32E6__halfEvPT0_S2_i.has_dyn_sized_stack, 0
	.set _Z21shuffle_rotate_kernelILj32E6__halfEvPT0_S2_i.has_recursion, 0
	.set _Z21shuffle_rotate_kernelILj32E6__halfEvPT0_S2_i.has_indirect_call, 0
	.section	.AMDGPU.csdata,"",@progbits
; Kernel info:
; codeLenInByte = 208
; TotalNumSgprs: 10
; NumVgprs: 6
; ScratchSize: 0
; MemoryBound: 0
; FloatMode: 240
; IeeeMode: 1
; LDSByteSize: 64 bytes/workgroup (compile time only)
; SGPRBlocks: 0
; VGPRBlocks: 0
; NumSGPRsForWavesPerEU: 10
; NumVGPRsForWavesPerEU: 6
; Occupancy: 16
; WaveLimiterHint : 0
; COMPUTE_PGM_RSRC2:SCRATCH_EN: 0
; COMPUTE_PGM_RSRC2:USER_SGPR: 2
; COMPUTE_PGM_RSRC2:TRAP_HANDLER: 0
; COMPUTE_PGM_RSRC2:TGID_X_EN: 1
; COMPUTE_PGM_RSRC2:TGID_Y_EN: 0
; COMPUTE_PGM_RSRC2:TGID_Z_EN: 0
; COMPUTE_PGM_RSRC2:TIDIG_COMP_CNT: 0
	.section	.text._Z21shuffle_rotate_kernelILj32EfEvPT0_S1_i,"axG",@progbits,_Z21shuffle_rotate_kernelILj32EfEvPT0_S1_i,comdat
	.protected	_Z21shuffle_rotate_kernelILj32EfEvPT0_S1_i ; -- Begin function _Z21shuffle_rotate_kernelILj32EfEvPT0_S1_i
	.globl	_Z21shuffle_rotate_kernelILj32EfEvPT0_S1_i
	.p2align	8
	.type	_Z21shuffle_rotate_kernelILj32EfEvPT0_S1_i,@function
_Z21shuffle_rotate_kernelILj32EfEvPT0_S1_i: ; @_Z21shuffle_rotate_kernelILj32EfEvPT0_S1_i
; %bb.0:
	s_load_b128 s[4:7], s[0:1], 0x0
	v_mov_b32_e32 v2, 0
	v_lshl_or_b32 v1, ttmp9, 5, v0
	s_load_b32 s0, s[0:1], 0x10
	s_delay_alu instid0(VALU_DEP_1) | instskip(SKIP_1) | instid1(VALU_DEP_1)
	v_lshlrev_b64_e32 v[1:2], 2, v[1:2]
	s_wait_kmcnt 0x0
	v_add_co_u32 v3, vcc_lo, s4, v1
	s_delay_alu instid0(VALU_DEP_1) | instskip(SKIP_4) | instid1(VALU_DEP_2)
	v_add_co_ci_u32_e64 v4, null, s5, v2, vcc_lo
	global_load_b32 v3, v[3:4], off
	v_add_nc_u32_e32 v4, s0, v0
	v_lshlrev_b32_e32 v0, 2, v0
	s_lshl_b32 s0, s0, 2
	v_lshrrev_b32_e32 v5, 26, v4
	v_cmp_gt_i32_e32 vcc_lo, 32, v4
	s_delay_alu instid0(VALU_DEP_2) | instskip(SKIP_1) | instid1(VALU_DEP_1)
	v_and_b32_e32 v5, 32, v5
	s_wait_alu 0xfffd
	v_cndmask_b32_e32 v4, 0xffffffe0, v5, vcc_lo
	s_delay_alu instid0(VALU_DEP_1) | instskip(SKIP_1) | instid1(VALU_DEP_1)
	v_lshlrev_b32_e32 v4, 2, v4
	s_wait_alu 0xfffe
	v_add3_u32 v4, v0, s0, v4
	s_wait_loadcnt 0x0
	ds_store_b32 v0, v3
	s_wait_dscnt 0x0
	; wave barrier
	global_inv scope:SCOPE_SE
	ds_load_b32 v3, v4
	v_add_co_u32 v0, vcc_lo, s6, v1
	s_wait_alu 0xfffd
	v_add_co_ci_u32_e64 v1, null, s7, v2, vcc_lo
	s_wait_dscnt 0x0
	global_store_b32 v[0:1], v3, off
	s_endpgm
	.section	.rodata,"a",@progbits
	.p2align	6, 0x0
	.amdhsa_kernel _Z21shuffle_rotate_kernelILj32EfEvPT0_S1_i
		.amdhsa_group_segment_fixed_size 128
		.amdhsa_private_segment_fixed_size 0
		.amdhsa_kernarg_size 20
		.amdhsa_user_sgpr_count 2
		.amdhsa_user_sgpr_dispatch_ptr 0
		.amdhsa_user_sgpr_queue_ptr 0
		.amdhsa_user_sgpr_kernarg_segment_ptr 1
		.amdhsa_user_sgpr_dispatch_id 0
		.amdhsa_user_sgpr_private_segment_size 0
		.amdhsa_wavefront_size32 1
		.amdhsa_uses_dynamic_stack 0
		.amdhsa_enable_private_segment 0
		.amdhsa_system_sgpr_workgroup_id_x 1
		.amdhsa_system_sgpr_workgroup_id_y 0
		.amdhsa_system_sgpr_workgroup_id_z 0
		.amdhsa_system_sgpr_workgroup_info 0
		.amdhsa_system_vgpr_workitem_id 0
		.amdhsa_next_free_vgpr 6
		.amdhsa_next_free_sgpr 8
		.amdhsa_reserve_vcc 1
		.amdhsa_float_round_mode_32 0
		.amdhsa_float_round_mode_16_64 0
		.amdhsa_float_denorm_mode_32 3
		.amdhsa_float_denorm_mode_16_64 3
		.amdhsa_fp16_overflow 0
		.amdhsa_workgroup_processor_mode 1
		.amdhsa_memory_ordered 1
		.amdhsa_forward_progress 1
		.amdhsa_inst_pref_size 2
		.amdhsa_round_robin_scheduling 0
		.amdhsa_exception_fp_ieee_invalid_op 0
		.amdhsa_exception_fp_denorm_src 0
		.amdhsa_exception_fp_ieee_div_zero 0
		.amdhsa_exception_fp_ieee_overflow 0
		.amdhsa_exception_fp_ieee_underflow 0
		.amdhsa_exception_fp_ieee_inexact 0
		.amdhsa_exception_int_div_zero 0
	.end_amdhsa_kernel
	.section	.text._Z21shuffle_rotate_kernelILj32EfEvPT0_S1_i,"axG",@progbits,_Z21shuffle_rotate_kernelILj32EfEvPT0_S1_i,comdat
.Lfunc_end19:
	.size	_Z21shuffle_rotate_kernelILj32EfEvPT0_S1_i, .Lfunc_end19-_Z21shuffle_rotate_kernelILj32EfEvPT0_S1_i
                                        ; -- End function
	.set _Z21shuffle_rotate_kernelILj32EfEvPT0_S1_i.num_vgpr, 6
	.set _Z21shuffle_rotate_kernelILj32EfEvPT0_S1_i.num_agpr, 0
	.set _Z21shuffle_rotate_kernelILj32EfEvPT0_S1_i.numbered_sgpr, 8
	.set _Z21shuffle_rotate_kernelILj32EfEvPT0_S1_i.num_named_barrier, 0
	.set _Z21shuffle_rotate_kernelILj32EfEvPT0_S1_i.private_seg_size, 0
	.set _Z21shuffle_rotate_kernelILj32EfEvPT0_S1_i.uses_vcc, 1
	.set _Z21shuffle_rotate_kernelILj32EfEvPT0_S1_i.uses_flat_scratch, 0
	.set _Z21shuffle_rotate_kernelILj32EfEvPT0_S1_i.has_dyn_sized_stack, 0
	.set _Z21shuffle_rotate_kernelILj32EfEvPT0_S1_i.has_recursion, 0
	.set _Z21shuffle_rotate_kernelILj32EfEvPT0_S1_i.has_indirect_call, 0
	.section	.AMDGPU.csdata,"",@progbits
; Kernel info:
; codeLenInByte = 208
; TotalNumSgprs: 10
; NumVgprs: 6
; ScratchSize: 0
; MemoryBound: 0
; FloatMode: 240
; IeeeMode: 1
; LDSByteSize: 128 bytes/workgroup (compile time only)
; SGPRBlocks: 0
; VGPRBlocks: 0
; NumSGPRsForWavesPerEU: 10
; NumVGPRsForWavesPerEU: 6
; Occupancy: 16
; WaveLimiterHint : 0
; COMPUTE_PGM_RSRC2:SCRATCH_EN: 0
; COMPUTE_PGM_RSRC2:USER_SGPR: 2
; COMPUTE_PGM_RSRC2:TRAP_HANDLER: 0
; COMPUTE_PGM_RSRC2:TGID_X_EN: 1
; COMPUTE_PGM_RSRC2:TGID_Y_EN: 0
; COMPUTE_PGM_RSRC2:TGID_Z_EN: 0
; COMPUTE_PGM_RSRC2:TIDIG_COMP_CNT: 0
	.section	.text._Z21shuffle_rotate_kernelILj377ElEvPT0_S1_i,"axG",@progbits,_Z21shuffle_rotate_kernelILj377ElEvPT0_S1_i,comdat
	.protected	_Z21shuffle_rotate_kernelILj377ElEvPT0_S1_i ; -- Begin function _Z21shuffle_rotate_kernelILj377ElEvPT0_S1_i
	.globl	_Z21shuffle_rotate_kernelILj377ElEvPT0_S1_i
	.p2align	8
	.type	_Z21shuffle_rotate_kernelILj377ElEvPT0_S1_i,@function
_Z21shuffle_rotate_kernelILj377ElEvPT0_S1_i: ; @_Z21shuffle_rotate_kernelILj377ElEvPT0_S1_i
; %bb.0:
	s_clause 0x1
	s_load_b128 s[4:7], s[0:1], 0x0
	s_load_b32 s0, s[0:1], 0x10
	v_mad_co_u64_u32 v[1:2], null, 0x179, ttmp9, v[0:1]
	s_wait_kmcnt 0x0
	v_dual_mov_b32 v2, 0 :: v_dual_add_nc_u32 v5, s0, v0
	s_delay_alu instid0(VALU_DEP_1) | instskip(SKIP_1) | instid1(VALU_DEP_3)
	v_lshlrev_b64_e32 v[1:2], 3, v[1:2]
	v_lshlrev_b32_e32 v0, 3, v0
	v_add_nc_u32_e32 v6, 0x179, v5
	s_delay_alu instid0(VALU_DEP_3) | instskip(NEXT) | instid1(VALU_DEP_1)
	v_add_co_u32 v3, vcc_lo, s4, v1
	v_add_co_ci_u32_e64 v4, null, s5, v2, vcc_lo
	v_cmp_gt_i32_e32 vcc_lo, 0, v5
	v_add_nc_u32_e32 v7, 0xfffffe87, v5
	global_load_b64 v[3:4], v[3:4], off
	s_wait_alu 0xfffd
	v_cndmask_b32_e32 v6, v5, v6, vcc_lo
	v_cmp_lt_i32_e32 vcc_lo, 0x178, v5
	s_wait_alu 0xfffd
	s_delay_alu instid0(VALU_DEP_2) | instskip(NEXT) | instid1(VALU_DEP_1)
	v_cndmask_b32_e32 v5, v6, v7, vcc_lo
	v_lshlrev_b32_e32 v5, 3, v5
	s_wait_loadcnt 0x0
	ds_store_b64 v0, v[3:4]
	s_wait_dscnt 0x0
	s_barrier_signal -1
	s_barrier_wait -1
	global_inv scope:SCOPE_SE
	ds_load_b64 v[3:4], v5
	v_add_co_u32 v0, vcc_lo, s6, v1
	s_wait_alu 0xfffd
	v_add_co_ci_u32_e64 v1, null, s7, v2, vcc_lo
	s_wait_dscnt 0x0
	global_store_b64 v[0:1], v[3:4], off
	s_endpgm
	.section	.rodata,"a",@progbits
	.p2align	6, 0x0
	.amdhsa_kernel _Z21shuffle_rotate_kernelILj377ElEvPT0_S1_i
		.amdhsa_group_segment_fixed_size 3016
		.amdhsa_private_segment_fixed_size 0
		.amdhsa_kernarg_size 20
		.amdhsa_user_sgpr_count 2
		.amdhsa_user_sgpr_dispatch_ptr 0
		.amdhsa_user_sgpr_queue_ptr 0
		.amdhsa_user_sgpr_kernarg_segment_ptr 1
		.amdhsa_user_sgpr_dispatch_id 0
		.amdhsa_user_sgpr_private_segment_size 0
		.amdhsa_wavefront_size32 1
		.amdhsa_uses_dynamic_stack 0
		.amdhsa_enable_private_segment 0
		.amdhsa_system_sgpr_workgroup_id_x 1
		.amdhsa_system_sgpr_workgroup_id_y 0
		.amdhsa_system_sgpr_workgroup_id_z 0
		.amdhsa_system_sgpr_workgroup_info 0
		.amdhsa_system_vgpr_workitem_id 0
		.amdhsa_next_free_vgpr 8
		.amdhsa_next_free_sgpr 8
		.amdhsa_reserve_vcc 1
		.amdhsa_float_round_mode_32 0
		.amdhsa_float_round_mode_16_64 0
		.amdhsa_float_denorm_mode_32 3
		.amdhsa_float_denorm_mode_16_64 3
		.amdhsa_fp16_overflow 0
		.amdhsa_workgroup_processor_mode 1
		.amdhsa_memory_ordered 1
		.amdhsa_forward_progress 1
		.amdhsa_inst_pref_size 2
		.amdhsa_round_robin_scheduling 0
		.amdhsa_exception_fp_ieee_invalid_op 0
		.amdhsa_exception_fp_denorm_src 0
		.amdhsa_exception_fp_ieee_div_zero 0
		.amdhsa_exception_fp_ieee_overflow 0
		.amdhsa_exception_fp_ieee_underflow 0
		.amdhsa_exception_fp_ieee_inexact 0
		.amdhsa_exception_int_div_zero 0
	.end_amdhsa_kernel
	.section	.text._Z21shuffle_rotate_kernelILj377ElEvPT0_S1_i,"axG",@progbits,_Z21shuffle_rotate_kernelILj377ElEvPT0_S1_i,comdat
.Lfunc_end20:
	.size	_Z21shuffle_rotate_kernelILj377ElEvPT0_S1_i, .Lfunc_end20-_Z21shuffle_rotate_kernelILj377ElEvPT0_S1_i
                                        ; -- End function
	.set _Z21shuffle_rotate_kernelILj377ElEvPT0_S1_i.num_vgpr, 8
	.set _Z21shuffle_rotate_kernelILj377ElEvPT0_S1_i.num_agpr, 0
	.set _Z21shuffle_rotate_kernelILj377ElEvPT0_S1_i.numbered_sgpr, 8
	.set _Z21shuffle_rotate_kernelILj377ElEvPT0_S1_i.num_named_barrier, 0
	.set _Z21shuffle_rotate_kernelILj377ElEvPT0_S1_i.private_seg_size, 0
	.set _Z21shuffle_rotate_kernelILj377ElEvPT0_S1_i.uses_vcc, 1
	.set _Z21shuffle_rotate_kernelILj377ElEvPT0_S1_i.uses_flat_scratch, 0
	.set _Z21shuffle_rotate_kernelILj377ElEvPT0_S1_i.has_dyn_sized_stack, 0
	.set _Z21shuffle_rotate_kernelILj377ElEvPT0_S1_i.has_recursion, 0
	.set _Z21shuffle_rotate_kernelILj377ElEvPT0_S1_i.has_indirect_call, 0
	.section	.AMDGPU.csdata,"",@progbits
; Kernel info:
; codeLenInByte = 224
; TotalNumSgprs: 10
; NumVgprs: 8
; ScratchSize: 0
; MemoryBound: 0
; FloatMode: 240
; IeeeMode: 1
; LDSByteSize: 3016 bytes/workgroup (compile time only)
; SGPRBlocks: 0
; VGPRBlocks: 0
; NumSGPRsForWavesPerEU: 10
; NumVGPRsForWavesPerEU: 8
; Occupancy: 15
; WaveLimiterHint : 0
; COMPUTE_PGM_RSRC2:SCRATCH_EN: 0
; COMPUTE_PGM_RSRC2:USER_SGPR: 2
; COMPUTE_PGM_RSRC2:TRAP_HANDLER: 0
; COMPUTE_PGM_RSRC2:TGID_X_EN: 1
; COMPUTE_PGM_RSRC2:TGID_Y_EN: 0
; COMPUTE_PGM_RSRC2:TGID_Z_EN: 0
; COMPUTE_PGM_RSRC2:TIDIG_COMP_CNT: 0
	.section	.text._Z21shuffle_rotate_kernelILj256ElEvPT0_S1_i,"axG",@progbits,_Z21shuffle_rotate_kernelILj256ElEvPT0_S1_i,comdat
	.protected	_Z21shuffle_rotate_kernelILj256ElEvPT0_S1_i ; -- Begin function _Z21shuffle_rotate_kernelILj256ElEvPT0_S1_i
	.globl	_Z21shuffle_rotate_kernelILj256ElEvPT0_S1_i
	.p2align	8
	.type	_Z21shuffle_rotate_kernelILj256ElEvPT0_S1_i,@function
_Z21shuffle_rotate_kernelILj256ElEvPT0_S1_i: ; @_Z21shuffle_rotate_kernelILj256ElEvPT0_S1_i
; %bb.0:
	s_clause 0x1
	s_load_b128 s[4:7], s[0:1], 0x0
	s_load_b32 s0, s[0:1], 0x10
	v_mov_b32_e32 v2, 0
	v_lshl_or_b32 v1, ttmp9, 8, v0
	s_wait_kmcnt 0x0
	v_add_nc_u32_e32 v5, s0, v0
	s_delay_alu instid0(VALU_DEP_2) | instskip(SKIP_2) | instid1(VALU_DEP_3)
	v_lshlrev_b64_e32 v[1:2], 3, v[1:2]
	s_lshl_b32 s0, s0, 3
	v_lshlrev_b32_e32 v0, 3, v0
	v_lshrrev_b32_e32 v6, 23, v5
	s_delay_alu instid0(VALU_DEP_3) | instskip(NEXT) | instid1(VALU_DEP_1)
	v_add_co_u32 v3, vcc_lo, s4, v1
	v_add_co_ci_u32_e64 v4, null, s5, v2, vcc_lo
	s_delay_alu instid0(VALU_DEP_3) | instskip(SKIP_4) | instid1(VALU_DEP_1)
	v_and_b32_e32 v6, 0x100, v6
	v_cmp_gt_i32_e32 vcc_lo, 0x100, v5
	global_load_b64 v[3:4], v[3:4], off
	s_wait_alu 0xfffd
	v_cndmask_b32_e32 v5, 0xffffff00, v6, vcc_lo
	v_lshlrev_b32_e32 v5, 3, v5
	s_wait_alu 0xfffe
	s_delay_alu instid0(VALU_DEP_1)
	v_add3_u32 v5, v0, s0, v5
	s_wait_loadcnt 0x0
	ds_store_b64 v0, v[3:4]
	s_wait_dscnt 0x0
	s_barrier_signal -1
	s_barrier_wait -1
	global_inv scope:SCOPE_SE
	ds_load_b64 v[3:4], v5
	v_add_co_u32 v0, vcc_lo, s6, v1
	s_wait_alu 0xfffd
	v_add_co_ci_u32_e64 v1, null, s7, v2, vcc_lo
	s_wait_dscnt 0x0
	global_store_b64 v[0:1], v[3:4], off
	s_endpgm
	.section	.rodata,"a",@progbits
	.p2align	6, 0x0
	.amdhsa_kernel _Z21shuffle_rotate_kernelILj256ElEvPT0_S1_i
		.amdhsa_group_segment_fixed_size 2048
		.amdhsa_private_segment_fixed_size 0
		.amdhsa_kernarg_size 20
		.amdhsa_user_sgpr_count 2
		.amdhsa_user_sgpr_dispatch_ptr 0
		.amdhsa_user_sgpr_queue_ptr 0
		.amdhsa_user_sgpr_kernarg_segment_ptr 1
		.amdhsa_user_sgpr_dispatch_id 0
		.amdhsa_user_sgpr_private_segment_size 0
		.amdhsa_wavefront_size32 1
		.amdhsa_uses_dynamic_stack 0
		.amdhsa_enable_private_segment 0
		.amdhsa_system_sgpr_workgroup_id_x 1
		.amdhsa_system_sgpr_workgroup_id_y 0
		.amdhsa_system_sgpr_workgroup_id_z 0
		.amdhsa_system_sgpr_workgroup_info 0
		.amdhsa_system_vgpr_workitem_id 0
		.amdhsa_next_free_vgpr 7
		.amdhsa_next_free_sgpr 8
		.amdhsa_reserve_vcc 1
		.amdhsa_float_round_mode_32 0
		.amdhsa_float_round_mode_16_64 0
		.amdhsa_float_denorm_mode_32 3
		.amdhsa_float_denorm_mode_16_64 3
		.amdhsa_fp16_overflow 0
		.amdhsa_workgroup_processor_mode 1
		.amdhsa_memory_ordered 1
		.amdhsa_forward_progress 1
		.amdhsa_inst_pref_size 2
		.amdhsa_round_robin_scheduling 0
		.amdhsa_exception_fp_ieee_invalid_op 0
		.amdhsa_exception_fp_denorm_src 0
		.amdhsa_exception_fp_ieee_div_zero 0
		.amdhsa_exception_fp_ieee_overflow 0
		.amdhsa_exception_fp_ieee_underflow 0
		.amdhsa_exception_fp_ieee_inexact 0
		.amdhsa_exception_int_div_zero 0
	.end_amdhsa_kernel
	.section	.text._Z21shuffle_rotate_kernelILj256ElEvPT0_S1_i,"axG",@progbits,_Z21shuffle_rotate_kernelILj256ElEvPT0_S1_i,comdat
.Lfunc_end21:
	.size	_Z21shuffle_rotate_kernelILj256ElEvPT0_S1_i, .Lfunc_end21-_Z21shuffle_rotate_kernelILj256ElEvPT0_S1_i
                                        ; -- End function
	.set _Z21shuffle_rotate_kernelILj256ElEvPT0_S1_i.num_vgpr, 7
	.set _Z21shuffle_rotate_kernelILj256ElEvPT0_S1_i.num_agpr, 0
	.set _Z21shuffle_rotate_kernelILj256ElEvPT0_S1_i.numbered_sgpr, 8
	.set _Z21shuffle_rotate_kernelILj256ElEvPT0_S1_i.num_named_barrier, 0
	.set _Z21shuffle_rotate_kernelILj256ElEvPT0_S1_i.private_seg_size, 0
	.set _Z21shuffle_rotate_kernelILj256ElEvPT0_S1_i.uses_vcc, 1
	.set _Z21shuffle_rotate_kernelILj256ElEvPT0_S1_i.uses_flat_scratch, 0
	.set _Z21shuffle_rotate_kernelILj256ElEvPT0_S1_i.has_dyn_sized_stack, 0
	.set _Z21shuffle_rotate_kernelILj256ElEvPT0_S1_i.has_recursion, 0
	.set _Z21shuffle_rotate_kernelILj256ElEvPT0_S1_i.has_indirect_call, 0
	.section	.AMDGPU.csdata,"",@progbits
; Kernel info:
; codeLenInByte = 228
; TotalNumSgprs: 10
; NumVgprs: 7
; ScratchSize: 0
; MemoryBound: 0
; FloatMode: 240
; IeeeMode: 1
; LDSByteSize: 2048 bytes/workgroup (compile time only)
; SGPRBlocks: 0
; VGPRBlocks: 0
; NumSGPRsForWavesPerEU: 10
; NumVGPRsForWavesPerEU: 7
; Occupancy: 16
; WaveLimiterHint : 0
; COMPUTE_PGM_RSRC2:SCRATCH_EN: 0
; COMPUTE_PGM_RSRC2:USER_SGPR: 2
; COMPUTE_PGM_RSRC2:TRAP_HANDLER: 0
; COMPUTE_PGM_RSRC2:TGID_X_EN: 1
; COMPUTE_PGM_RSRC2:TGID_Y_EN: 0
; COMPUTE_PGM_RSRC2:TGID_Z_EN: 0
; COMPUTE_PGM_RSRC2:TIDIG_COMP_CNT: 0
	.section	.text._Z21shuffle_rotate_kernelILj64ElEvPT0_S1_i,"axG",@progbits,_Z21shuffle_rotate_kernelILj64ElEvPT0_S1_i,comdat
	.protected	_Z21shuffle_rotate_kernelILj64ElEvPT0_S1_i ; -- Begin function _Z21shuffle_rotate_kernelILj64ElEvPT0_S1_i
	.globl	_Z21shuffle_rotate_kernelILj64ElEvPT0_S1_i
	.p2align	8
	.type	_Z21shuffle_rotate_kernelILj64ElEvPT0_S1_i,@function
_Z21shuffle_rotate_kernelILj64ElEvPT0_S1_i: ; @_Z21shuffle_rotate_kernelILj64ElEvPT0_S1_i
; %bb.0:
	s_clause 0x1
	s_load_b128 s[4:7], s[0:1], 0x0
	s_load_b32 s0, s[0:1], 0x10
	v_mov_b32_e32 v2, 0
	v_lshl_or_b32 v1, ttmp9, 6, v0
	s_wait_kmcnt 0x0
	v_add_nc_u32_e32 v5, s0, v0
	s_delay_alu instid0(VALU_DEP_2) | instskip(SKIP_2) | instid1(VALU_DEP_3)
	v_lshlrev_b64_e32 v[1:2], 3, v[1:2]
	s_lshl_b32 s0, s0, 3
	v_lshlrev_b32_e32 v0, 3, v0
	v_lshrrev_b32_e32 v6, 25, v5
	s_delay_alu instid0(VALU_DEP_3) | instskip(NEXT) | instid1(VALU_DEP_1)
	v_add_co_u32 v3, vcc_lo, s4, v1
	v_add_co_ci_u32_e64 v4, null, s5, v2, vcc_lo
	s_delay_alu instid0(VALU_DEP_3) | instskip(SKIP_4) | instid1(VALU_DEP_1)
	v_and_b32_e32 v6, 64, v6
	v_cmp_gt_i32_e32 vcc_lo, 64, v5
	global_load_b64 v[3:4], v[3:4], off
	s_wait_alu 0xfffd
	v_cndmask_b32_e32 v5, 0xffffffc0, v6, vcc_lo
	v_lshlrev_b32_e32 v5, 3, v5
	s_wait_alu 0xfffe
	s_delay_alu instid0(VALU_DEP_1)
	v_add3_u32 v5, v0, s0, v5
	s_wait_loadcnt 0x0
	ds_store_b64 v0, v[3:4]
	s_wait_dscnt 0x0
	s_barrier_signal -1
	s_barrier_wait -1
	global_inv scope:SCOPE_SE
	ds_load_b64 v[3:4], v5
	v_add_co_u32 v0, vcc_lo, s6, v1
	s_wait_alu 0xfffd
	v_add_co_ci_u32_e64 v1, null, s7, v2, vcc_lo
	s_wait_dscnt 0x0
	global_store_b64 v[0:1], v[3:4], off
	s_endpgm
	.section	.rodata,"a",@progbits
	.p2align	6, 0x0
	.amdhsa_kernel _Z21shuffle_rotate_kernelILj64ElEvPT0_S1_i
		.amdhsa_group_segment_fixed_size 512
		.amdhsa_private_segment_fixed_size 0
		.amdhsa_kernarg_size 20
		.amdhsa_user_sgpr_count 2
		.amdhsa_user_sgpr_dispatch_ptr 0
		.amdhsa_user_sgpr_queue_ptr 0
		.amdhsa_user_sgpr_kernarg_segment_ptr 1
		.amdhsa_user_sgpr_dispatch_id 0
		.amdhsa_user_sgpr_private_segment_size 0
		.amdhsa_wavefront_size32 1
		.amdhsa_uses_dynamic_stack 0
		.amdhsa_enable_private_segment 0
		.amdhsa_system_sgpr_workgroup_id_x 1
		.amdhsa_system_sgpr_workgroup_id_y 0
		.amdhsa_system_sgpr_workgroup_id_z 0
		.amdhsa_system_sgpr_workgroup_info 0
		.amdhsa_system_vgpr_workitem_id 0
		.amdhsa_next_free_vgpr 7
		.amdhsa_next_free_sgpr 8
		.amdhsa_reserve_vcc 1
		.amdhsa_float_round_mode_32 0
		.amdhsa_float_round_mode_16_64 0
		.amdhsa_float_denorm_mode_32 3
		.amdhsa_float_denorm_mode_16_64 3
		.amdhsa_fp16_overflow 0
		.amdhsa_workgroup_processor_mode 1
		.amdhsa_memory_ordered 1
		.amdhsa_forward_progress 1
		.amdhsa_inst_pref_size 2
		.amdhsa_round_robin_scheduling 0
		.amdhsa_exception_fp_ieee_invalid_op 0
		.amdhsa_exception_fp_denorm_src 0
		.amdhsa_exception_fp_ieee_div_zero 0
		.amdhsa_exception_fp_ieee_overflow 0
		.amdhsa_exception_fp_ieee_underflow 0
		.amdhsa_exception_fp_ieee_inexact 0
		.amdhsa_exception_int_div_zero 0
	.end_amdhsa_kernel
	.section	.text._Z21shuffle_rotate_kernelILj64ElEvPT0_S1_i,"axG",@progbits,_Z21shuffle_rotate_kernelILj64ElEvPT0_S1_i,comdat
.Lfunc_end22:
	.size	_Z21shuffle_rotate_kernelILj64ElEvPT0_S1_i, .Lfunc_end22-_Z21shuffle_rotate_kernelILj64ElEvPT0_S1_i
                                        ; -- End function
	.set _Z21shuffle_rotate_kernelILj64ElEvPT0_S1_i.num_vgpr, 7
	.set _Z21shuffle_rotate_kernelILj64ElEvPT0_S1_i.num_agpr, 0
	.set _Z21shuffle_rotate_kernelILj64ElEvPT0_S1_i.numbered_sgpr, 8
	.set _Z21shuffle_rotate_kernelILj64ElEvPT0_S1_i.num_named_barrier, 0
	.set _Z21shuffle_rotate_kernelILj64ElEvPT0_S1_i.private_seg_size, 0
	.set _Z21shuffle_rotate_kernelILj64ElEvPT0_S1_i.uses_vcc, 1
	.set _Z21shuffle_rotate_kernelILj64ElEvPT0_S1_i.uses_flat_scratch, 0
	.set _Z21shuffle_rotate_kernelILj64ElEvPT0_S1_i.has_dyn_sized_stack, 0
	.set _Z21shuffle_rotate_kernelILj64ElEvPT0_S1_i.has_recursion, 0
	.set _Z21shuffle_rotate_kernelILj64ElEvPT0_S1_i.has_indirect_call, 0
	.section	.AMDGPU.csdata,"",@progbits
; Kernel info:
; codeLenInByte = 220
; TotalNumSgprs: 10
; NumVgprs: 7
; ScratchSize: 0
; MemoryBound: 0
; FloatMode: 240
; IeeeMode: 1
; LDSByteSize: 512 bytes/workgroup (compile time only)
; SGPRBlocks: 0
; VGPRBlocks: 0
; NumSGPRsForWavesPerEU: 10
; NumVGPRsForWavesPerEU: 7
; Occupancy: 16
; WaveLimiterHint : 0
; COMPUTE_PGM_RSRC2:SCRATCH_EN: 0
; COMPUTE_PGM_RSRC2:USER_SGPR: 2
; COMPUTE_PGM_RSRC2:TRAP_HANDLER: 0
; COMPUTE_PGM_RSRC2:TGID_X_EN: 1
; COMPUTE_PGM_RSRC2:TGID_Y_EN: 0
; COMPUTE_PGM_RSRC2:TGID_Z_EN: 0
; COMPUTE_PGM_RSRC2:TIDIG_COMP_CNT: 0
	.section	.text._Z21shuffle_rotate_kernelILj377EjEvPT0_S1_i,"axG",@progbits,_Z21shuffle_rotate_kernelILj377EjEvPT0_S1_i,comdat
	.protected	_Z21shuffle_rotate_kernelILj377EjEvPT0_S1_i ; -- Begin function _Z21shuffle_rotate_kernelILj377EjEvPT0_S1_i
	.globl	_Z21shuffle_rotate_kernelILj377EjEvPT0_S1_i
	.p2align	8
	.type	_Z21shuffle_rotate_kernelILj377EjEvPT0_S1_i,@function
_Z21shuffle_rotate_kernelILj377EjEvPT0_S1_i: ; @_Z21shuffle_rotate_kernelILj377EjEvPT0_S1_i
; %bb.0:
	s_load_b128 s[4:7], s[0:1], 0x0
	v_mad_co_u64_u32 v[1:2], null, 0x179, ttmp9, v[0:1]
	v_mov_b32_e32 v2, 0
	s_load_b32 s0, s[0:1], 0x10
	s_delay_alu instid0(VALU_DEP_1) | instskip(SKIP_1) | instid1(VALU_DEP_1)
	v_lshlrev_b64_e32 v[1:2], 2, v[1:2]
	s_wait_kmcnt 0x0
	v_add_co_u32 v3, vcc_lo, s4, v1
	s_delay_alu instid0(VALU_DEP_1) | instskip(SKIP_3) | instid1(VALU_DEP_2)
	v_add_co_ci_u32_e64 v4, null, s5, v2, vcc_lo
	global_load_b32 v3, v[3:4], off
	v_add_nc_u32_e32 v4, s0, v0
	v_lshlrev_b32_e32 v0, 2, v0
	v_add_nc_u32_e32 v5, 0x179, v4
	v_cmp_gt_i32_e32 vcc_lo, 0, v4
	s_wait_alu 0xfffd
	s_delay_alu instid0(VALU_DEP_2) | instskip(SKIP_2) | instid1(VALU_DEP_2)
	v_dual_cndmask_b32 v5, v4, v5 :: v_dual_add_nc_u32 v6, 0xfffffe87, v4
	v_cmp_lt_i32_e32 vcc_lo, 0x178, v4
	s_wait_alu 0xfffd
	v_cndmask_b32_e32 v4, v5, v6, vcc_lo
	s_delay_alu instid0(VALU_DEP_1)
	v_lshlrev_b32_e32 v4, 2, v4
	s_wait_loadcnt 0x0
	ds_store_b32 v0, v3
	s_wait_dscnt 0x0
	s_barrier_signal -1
	s_barrier_wait -1
	global_inv scope:SCOPE_SE
	ds_load_b32 v3, v4
	v_add_co_u32 v0, vcc_lo, s6, v1
	s_wait_alu 0xfffd
	v_add_co_ci_u32_e64 v1, null, s7, v2, vcc_lo
	s_wait_dscnt 0x0
	global_store_b32 v[0:1], v3, off
	s_endpgm
	.section	.rodata,"a",@progbits
	.p2align	6, 0x0
	.amdhsa_kernel _Z21shuffle_rotate_kernelILj377EjEvPT0_S1_i
		.amdhsa_group_segment_fixed_size 1508
		.amdhsa_private_segment_fixed_size 0
		.amdhsa_kernarg_size 20
		.amdhsa_user_sgpr_count 2
		.amdhsa_user_sgpr_dispatch_ptr 0
		.amdhsa_user_sgpr_queue_ptr 0
		.amdhsa_user_sgpr_kernarg_segment_ptr 1
		.amdhsa_user_sgpr_dispatch_id 0
		.amdhsa_user_sgpr_private_segment_size 0
		.amdhsa_wavefront_size32 1
		.amdhsa_uses_dynamic_stack 0
		.amdhsa_enable_private_segment 0
		.amdhsa_system_sgpr_workgroup_id_x 1
		.amdhsa_system_sgpr_workgroup_id_y 0
		.amdhsa_system_sgpr_workgroup_id_z 0
		.amdhsa_system_sgpr_workgroup_info 0
		.amdhsa_system_vgpr_workitem_id 0
		.amdhsa_next_free_vgpr 7
		.amdhsa_next_free_sgpr 8
		.amdhsa_reserve_vcc 1
		.amdhsa_float_round_mode_32 0
		.amdhsa_float_round_mode_16_64 0
		.amdhsa_float_denorm_mode_32 3
		.amdhsa_float_denorm_mode_16_64 3
		.amdhsa_fp16_overflow 0
		.amdhsa_workgroup_processor_mode 1
		.amdhsa_memory_ordered 1
		.amdhsa_forward_progress 1
		.amdhsa_inst_pref_size 2
		.amdhsa_round_robin_scheduling 0
		.amdhsa_exception_fp_ieee_invalid_op 0
		.amdhsa_exception_fp_denorm_src 0
		.amdhsa_exception_fp_ieee_div_zero 0
		.amdhsa_exception_fp_ieee_overflow 0
		.amdhsa_exception_fp_ieee_underflow 0
		.amdhsa_exception_fp_ieee_inexact 0
		.amdhsa_exception_int_div_zero 0
	.end_amdhsa_kernel
	.section	.text._Z21shuffle_rotate_kernelILj377EjEvPT0_S1_i,"axG",@progbits,_Z21shuffle_rotate_kernelILj377EjEvPT0_S1_i,comdat
.Lfunc_end23:
	.size	_Z21shuffle_rotate_kernelILj377EjEvPT0_S1_i, .Lfunc_end23-_Z21shuffle_rotate_kernelILj377EjEvPT0_S1_i
                                        ; -- End function
	.set _Z21shuffle_rotate_kernelILj377EjEvPT0_S1_i.num_vgpr, 7
	.set _Z21shuffle_rotate_kernelILj377EjEvPT0_S1_i.num_agpr, 0
	.set _Z21shuffle_rotate_kernelILj377EjEvPT0_S1_i.numbered_sgpr, 8
	.set _Z21shuffle_rotate_kernelILj377EjEvPT0_S1_i.num_named_barrier, 0
	.set _Z21shuffle_rotate_kernelILj377EjEvPT0_S1_i.private_seg_size, 0
	.set _Z21shuffle_rotate_kernelILj377EjEvPT0_S1_i.uses_vcc, 1
	.set _Z21shuffle_rotate_kernelILj377EjEvPT0_S1_i.uses_flat_scratch, 0
	.set _Z21shuffle_rotate_kernelILj377EjEvPT0_S1_i.has_dyn_sized_stack, 0
	.set _Z21shuffle_rotate_kernelILj377EjEvPT0_S1_i.has_recursion, 0
	.set _Z21shuffle_rotate_kernelILj377EjEvPT0_S1_i.has_indirect_call, 0
	.section	.AMDGPU.csdata,"",@progbits
; Kernel info:
; codeLenInByte = 224
; TotalNumSgprs: 10
; NumVgprs: 7
; ScratchSize: 0
; MemoryBound: 0
; FloatMode: 240
; IeeeMode: 1
; LDSByteSize: 1508 bytes/workgroup (compile time only)
; SGPRBlocks: 0
; VGPRBlocks: 0
; NumSGPRsForWavesPerEU: 10
; NumVGPRsForWavesPerEU: 7
; Occupancy: 16
; WaveLimiterHint : 0
; COMPUTE_PGM_RSRC2:SCRATCH_EN: 0
; COMPUTE_PGM_RSRC2:USER_SGPR: 2
; COMPUTE_PGM_RSRC2:TRAP_HANDLER: 0
; COMPUTE_PGM_RSRC2:TGID_X_EN: 1
; COMPUTE_PGM_RSRC2:TGID_Y_EN: 0
; COMPUTE_PGM_RSRC2:TGID_Z_EN: 0
; COMPUTE_PGM_RSRC2:TIDIG_COMP_CNT: 0
	.section	.text._Z21shuffle_rotate_kernelILj256EjEvPT0_S1_i,"axG",@progbits,_Z21shuffle_rotate_kernelILj256EjEvPT0_S1_i,comdat
	.protected	_Z21shuffle_rotate_kernelILj256EjEvPT0_S1_i ; -- Begin function _Z21shuffle_rotate_kernelILj256EjEvPT0_S1_i
	.globl	_Z21shuffle_rotate_kernelILj256EjEvPT0_S1_i
	.p2align	8
	.type	_Z21shuffle_rotate_kernelILj256EjEvPT0_S1_i,@function
_Z21shuffle_rotate_kernelILj256EjEvPT0_S1_i: ; @_Z21shuffle_rotate_kernelILj256EjEvPT0_S1_i
; %bb.0:
	s_load_b128 s[4:7], s[0:1], 0x0
	v_mov_b32_e32 v2, 0
	v_lshl_or_b32 v1, ttmp9, 8, v0
	s_load_b32 s0, s[0:1], 0x10
	s_delay_alu instid0(VALU_DEP_1) | instskip(SKIP_1) | instid1(VALU_DEP_1)
	v_lshlrev_b64_e32 v[1:2], 2, v[1:2]
	s_wait_kmcnt 0x0
	v_add_co_u32 v3, vcc_lo, s4, v1
	s_delay_alu instid0(VALU_DEP_1) | instskip(SKIP_4) | instid1(VALU_DEP_2)
	v_add_co_ci_u32_e64 v4, null, s5, v2, vcc_lo
	global_load_b32 v3, v[3:4], off
	v_add_nc_u32_e32 v4, s0, v0
	v_lshlrev_b32_e32 v0, 2, v0
	s_lshl_b32 s0, s0, 2
	v_lshrrev_b32_e32 v5, 23, v4
	v_cmp_gt_i32_e32 vcc_lo, 0x100, v4
	s_delay_alu instid0(VALU_DEP_2) | instskip(SKIP_1) | instid1(VALU_DEP_1)
	v_and_b32_e32 v5, 0x100, v5
	s_wait_alu 0xfffd
	v_cndmask_b32_e32 v4, 0xffffff00, v5, vcc_lo
	s_delay_alu instid0(VALU_DEP_1) | instskip(SKIP_1) | instid1(VALU_DEP_1)
	v_lshlrev_b32_e32 v4, 2, v4
	s_wait_alu 0xfffe
	v_add3_u32 v4, v0, s0, v4
	s_wait_loadcnt 0x0
	ds_store_b32 v0, v3
	s_wait_dscnt 0x0
	s_barrier_signal -1
	s_barrier_wait -1
	global_inv scope:SCOPE_SE
	ds_load_b32 v3, v4
	v_add_co_u32 v0, vcc_lo, s6, v1
	s_wait_alu 0xfffd
	v_add_co_ci_u32_e64 v1, null, s7, v2, vcc_lo
	s_wait_dscnt 0x0
	global_store_b32 v[0:1], v3, off
	s_endpgm
	.section	.rodata,"a",@progbits
	.p2align	6, 0x0
	.amdhsa_kernel _Z21shuffle_rotate_kernelILj256EjEvPT0_S1_i
		.amdhsa_group_segment_fixed_size 1024
		.amdhsa_private_segment_fixed_size 0
		.amdhsa_kernarg_size 20
		.amdhsa_user_sgpr_count 2
		.amdhsa_user_sgpr_dispatch_ptr 0
		.amdhsa_user_sgpr_queue_ptr 0
		.amdhsa_user_sgpr_kernarg_segment_ptr 1
		.amdhsa_user_sgpr_dispatch_id 0
		.amdhsa_user_sgpr_private_segment_size 0
		.amdhsa_wavefront_size32 1
		.amdhsa_uses_dynamic_stack 0
		.amdhsa_enable_private_segment 0
		.amdhsa_system_sgpr_workgroup_id_x 1
		.amdhsa_system_sgpr_workgroup_id_y 0
		.amdhsa_system_sgpr_workgroup_id_z 0
		.amdhsa_system_sgpr_workgroup_info 0
		.amdhsa_system_vgpr_workitem_id 0
		.amdhsa_next_free_vgpr 6
		.amdhsa_next_free_sgpr 8
		.amdhsa_reserve_vcc 1
		.amdhsa_float_round_mode_32 0
		.amdhsa_float_round_mode_16_64 0
		.amdhsa_float_denorm_mode_32 3
		.amdhsa_float_denorm_mode_16_64 3
		.amdhsa_fp16_overflow 0
		.amdhsa_workgroup_processor_mode 1
		.amdhsa_memory_ordered 1
		.amdhsa_forward_progress 1
		.amdhsa_inst_pref_size 2
		.amdhsa_round_robin_scheduling 0
		.amdhsa_exception_fp_ieee_invalid_op 0
		.amdhsa_exception_fp_denorm_src 0
		.amdhsa_exception_fp_ieee_div_zero 0
		.amdhsa_exception_fp_ieee_overflow 0
		.amdhsa_exception_fp_ieee_underflow 0
		.amdhsa_exception_fp_ieee_inexact 0
		.amdhsa_exception_int_div_zero 0
	.end_amdhsa_kernel
	.section	.text._Z21shuffle_rotate_kernelILj256EjEvPT0_S1_i,"axG",@progbits,_Z21shuffle_rotate_kernelILj256EjEvPT0_S1_i,comdat
.Lfunc_end24:
	.size	_Z21shuffle_rotate_kernelILj256EjEvPT0_S1_i, .Lfunc_end24-_Z21shuffle_rotate_kernelILj256EjEvPT0_S1_i
                                        ; -- End function
	.set _Z21shuffle_rotate_kernelILj256EjEvPT0_S1_i.num_vgpr, 6
	.set _Z21shuffle_rotate_kernelILj256EjEvPT0_S1_i.num_agpr, 0
	.set _Z21shuffle_rotate_kernelILj256EjEvPT0_S1_i.numbered_sgpr, 8
	.set _Z21shuffle_rotate_kernelILj256EjEvPT0_S1_i.num_named_barrier, 0
	.set _Z21shuffle_rotate_kernelILj256EjEvPT0_S1_i.private_seg_size, 0
	.set _Z21shuffle_rotate_kernelILj256EjEvPT0_S1_i.uses_vcc, 1
	.set _Z21shuffle_rotate_kernelILj256EjEvPT0_S1_i.uses_flat_scratch, 0
	.set _Z21shuffle_rotate_kernelILj256EjEvPT0_S1_i.has_dyn_sized_stack, 0
	.set _Z21shuffle_rotate_kernelILj256EjEvPT0_S1_i.has_recursion, 0
	.set _Z21shuffle_rotate_kernelILj256EjEvPT0_S1_i.has_indirect_call, 0
	.section	.AMDGPU.csdata,"",@progbits
; Kernel info:
; codeLenInByte = 224
; TotalNumSgprs: 10
; NumVgprs: 6
; ScratchSize: 0
; MemoryBound: 0
; FloatMode: 240
; IeeeMode: 1
; LDSByteSize: 1024 bytes/workgroup (compile time only)
; SGPRBlocks: 0
; VGPRBlocks: 0
; NumSGPRsForWavesPerEU: 10
; NumVGPRsForWavesPerEU: 6
; Occupancy: 16
; WaveLimiterHint : 0
; COMPUTE_PGM_RSRC2:SCRATCH_EN: 0
; COMPUTE_PGM_RSRC2:USER_SGPR: 2
; COMPUTE_PGM_RSRC2:TRAP_HANDLER: 0
; COMPUTE_PGM_RSRC2:TGID_X_EN: 1
; COMPUTE_PGM_RSRC2:TGID_Y_EN: 0
; COMPUTE_PGM_RSRC2:TGID_Z_EN: 0
; COMPUTE_PGM_RSRC2:TIDIG_COMP_CNT: 0
	.section	.text._Z21shuffle_rotate_kernelILj64EjEvPT0_S1_i,"axG",@progbits,_Z21shuffle_rotate_kernelILj64EjEvPT0_S1_i,comdat
	.protected	_Z21shuffle_rotate_kernelILj64EjEvPT0_S1_i ; -- Begin function _Z21shuffle_rotate_kernelILj64EjEvPT0_S1_i
	.globl	_Z21shuffle_rotate_kernelILj64EjEvPT0_S1_i
	.p2align	8
	.type	_Z21shuffle_rotate_kernelILj64EjEvPT0_S1_i,@function
_Z21shuffle_rotate_kernelILj64EjEvPT0_S1_i: ; @_Z21shuffle_rotate_kernelILj64EjEvPT0_S1_i
; %bb.0:
	s_load_b128 s[4:7], s[0:1], 0x0
	v_mov_b32_e32 v2, 0
	v_lshl_or_b32 v1, ttmp9, 6, v0
	s_load_b32 s0, s[0:1], 0x10
	s_delay_alu instid0(VALU_DEP_1) | instskip(SKIP_1) | instid1(VALU_DEP_1)
	v_lshlrev_b64_e32 v[1:2], 2, v[1:2]
	s_wait_kmcnt 0x0
	v_add_co_u32 v3, vcc_lo, s4, v1
	s_delay_alu instid0(VALU_DEP_1) | instskip(SKIP_4) | instid1(VALU_DEP_2)
	v_add_co_ci_u32_e64 v4, null, s5, v2, vcc_lo
	global_load_b32 v3, v[3:4], off
	v_add_nc_u32_e32 v4, s0, v0
	v_lshlrev_b32_e32 v0, 2, v0
	s_lshl_b32 s0, s0, 2
	v_lshrrev_b32_e32 v5, 25, v4
	v_cmp_gt_i32_e32 vcc_lo, 64, v4
	s_delay_alu instid0(VALU_DEP_2) | instskip(SKIP_1) | instid1(VALU_DEP_1)
	v_and_b32_e32 v5, 64, v5
	s_wait_alu 0xfffd
	v_cndmask_b32_e32 v4, 0xffffffc0, v5, vcc_lo
	s_delay_alu instid0(VALU_DEP_1) | instskip(SKIP_1) | instid1(VALU_DEP_1)
	v_lshlrev_b32_e32 v4, 2, v4
	s_wait_alu 0xfffe
	v_add3_u32 v4, v0, s0, v4
	s_wait_loadcnt 0x0
	ds_store_b32 v0, v3
	s_wait_dscnt 0x0
	s_barrier_signal -1
	s_barrier_wait -1
	global_inv scope:SCOPE_SE
	ds_load_b32 v3, v4
	v_add_co_u32 v0, vcc_lo, s6, v1
	s_wait_alu 0xfffd
	v_add_co_ci_u32_e64 v1, null, s7, v2, vcc_lo
	s_wait_dscnt 0x0
	global_store_b32 v[0:1], v3, off
	s_endpgm
	.section	.rodata,"a",@progbits
	.p2align	6, 0x0
	.amdhsa_kernel _Z21shuffle_rotate_kernelILj64EjEvPT0_S1_i
		.amdhsa_group_segment_fixed_size 256
		.amdhsa_private_segment_fixed_size 0
		.amdhsa_kernarg_size 20
		.amdhsa_user_sgpr_count 2
		.amdhsa_user_sgpr_dispatch_ptr 0
		.amdhsa_user_sgpr_queue_ptr 0
		.amdhsa_user_sgpr_kernarg_segment_ptr 1
		.amdhsa_user_sgpr_dispatch_id 0
		.amdhsa_user_sgpr_private_segment_size 0
		.amdhsa_wavefront_size32 1
		.amdhsa_uses_dynamic_stack 0
		.amdhsa_enable_private_segment 0
		.amdhsa_system_sgpr_workgroup_id_x 1
		.amdhsa_system_sgpr_workgroup_id_y 0
		.amdhsa_system_sgpr_workgroup_id_z 0
		.amdhsa_system_sgpr_workgroup_info 0
		.amdhsa_system_vgpr_workitem_id 0
		.amdhsa_next_free_vgpr 6
		.amdhsa_next_free_sgpr 8
		.amdhsa_reserve_vcc 1
		.amdhsa_float_round_mode_32 0
		.amdhsa_float_round_mode_16_64 0
		.amdhsa_float_denorm_mode_32 3
		.amdhsa_float_denorm_mode_16_64 3
		.amdhsa_fp16_overflow 0
		.amdhsa_workgroup_processor_mode 1
		.amdhsa_memory_ordered 1
		.amdhsa_forward_progress 1
		.amdhsa_inst_pref_size 2
		.amdhsa_round_robin_scheduling 0
		.amdhsa_exception_fp_ieee_invalid_op 0
		.amdhsa_exception_fp_denorm_src 0
		.amdhsa_exception_fp_ieee_div_zero 0
		.amdhsa_exception_fp_ieee_overflow 0
		.amdhsa_exception_fp_ieee_underflow 0
		.amdhsa_exception_fp_ieee_inexact 0
		.amdhsa_exception_int_div_zero 0
	.end_amdhsa_kernel
	.section	.text._Z21shuffle_rotate_kernelILj64EjEvPT0_S1_i,"axG",@progbits,_Z21shuffle_rotate_kernelILj64EjEvPT0_S1_i,comdat
.Lfunc_end25:
	.size	_Z21shuffle_rotate_kernelILj64EjEvPT0_S1_i, .Lfunc_end25-_Z21shuffle_rotate_kernelILj64EjEvPT0_S1_i
                                        ; -- End function
	.set _Z21shuffle_rotate_kernelILj64EjEvPT0_S1_i.num_vgpr, 6
	.set _Z21shuffle_rotate_kernelILj64EjEvPT0_S1_i.num_agpr, 0
	.set _Z21shuffle_rotate_kernelILj64EjEvPT0_S1_i.numbered_sgpr, 8
	.set _Z21shuffle_rotate_kernelILj64EjEvPT0_S1_i.num_named_barrier, 0
	.set _Z21shuffle_rotate_kernelILj64EjEvPT0_S1_i.private_seg_size, 0
	.set _Z21shuffle_rotate_kernelILj64EjEvPT0_S1_i.uses_vcc, 1
	.set _Z21shuffle_rotate_kernelILj64EjEvPT0_S1_i.uses_flat_scratch, 0
	.set _Z21shuffle_rotate_kernelILj64EjEvPT0_S1_i.has_dyn_sized_stack, 0
	.set _Z21shuffle_rotate_kernelILj64EjEvPT0_S1_i.has_recursion, 0
	.set _Z21shuffle_rotate_kernelILj64EjEvPT0_S1_i.has_indirect_call, 0
	.section	.AMDGPU.csdata,"",@progbits
; Kernel info:
; codeLenInByte = 216
; TotalNumSgprs: 10
; NumVgprs: 6
; ScratchSize: 0
; MemoryBound: 0
; FloatMode: 240
; IeeeMode: 1
; LDSByteSize: 256 bytes/workgroup (compile time only)
; SGPRBlocks: 0
; VGPRBlocks: 0
; NumSGPRsForWavesPerEU: 10
; NumVGPRsForWavesPerEU: 6
; Occupancy: 16
; WaveLimiterHint : 0
; COMPUTE_PGM_RSRC2:SCRATCH_EN: 0
; COMPUTE_PGM_RSRC2:USER_SGPR: 2
; COMPUTE_PGM_RSRC2:TRAP_HANDLER: 0
; COMPUTE_PGM_RSRC2:TGID_X_EN: 1
; COMPUTE_PGM_RSRC2:TGID_Y_EN: 0
; COMPUTE_PGM_RSRC2:TGID_Z_EN: 0
; COMPUTE_PGM_RSRC2:TIDIG_COMP_CNT: 0
	.section	.text._Z21shuffle_rotate_kernelILj255EiEvPT0_S1_i,"axG",@progbits,_Z21shuffle_rotate_kernelILj255EiEvPT0_S1_i,comdat
	.protected	_Z21shuffle_rotate_kernelILj255EiEvPT0_S1_i ; -- Begin function _Z21shuffle_rotate_kernelILj255EiEvPT0_S1_i
	.globl	_Z21shuffle_rotate_kernelILj255EiEvPT0_S1_i
	.p2align	8
	.type	_Z21shuffle_rotate_kernelILj255EiEvPT0_S1_i,@function
_Z21shuffle_rotate_kernelILj255EiEvPT0_S1_i: ; @_Z21shuffle_rotate_kernelILj255EiEvPT0_S1_i
; %bb.0:
	s_load_b128 s[4:7], s[0:1], 0x0
	v_mad_co_u64_u32 v[1:2], null, 0xff, ttmp9, v[0:1]
	v_mov_b32_e32 v2, 0
	s_load_b32 s0, s[0:1], 0x10
	s_delay_alu instid0(VALU_DEP_1) | instskip(SKIP_1) | instid1(VALU_DEP_1)
	v_lshlrev_b64_e32 v[1:2], 2, v[1:2]
	s_wait_kmcnt 0x0
	v_add_co_u32 v3, vcc_lo, s4, v1
	s_delay_alu instid0(VALU_DEP_1) | instskip(SKIP_3) | instid1(VALU_DEP_2)
	v_add_co_ci_u32_e64 v4, null, s5, v2, vcc_lo
	global_load_b32 v3, v[3:4], off
	v_add_nc_u32_e32 v4, s0, v0
	v_lshlrev_b32_e32 v0, 2, v0
	v_add_nc_u32_e32 v5, 0xff, v4
	v_cmp_gt_i32_e32 vcc_lo, 0, v4
	s_wait_alu 0xfffd
	s_delay_alu instid0(VALU_DEP_2) | instskip(SKIP_2) | instid1(VALU_DEP_2)
	v_dual_cndmask_b32 v5, v4, v5 :: v_dual_add_nc_u32 v6, 0xffffff01, v4
	v_cmp_lt_i32_e32 vcc_lo, 0xfe, v4
	s_wait_alu 0xfffd
	v_cndmask_b32_e32 v4, v5, v6, vcc_lo
	s_delay_alu instid0(VALU_DEP_1)
	v_lshlrev_b32_e32 v4, 2, v4
	s_wait_loadcnt 0x0
	ds_store_b32 v0, v3
	s_wait_dscnt 0x0
	s_barrier_signal -1
	s_barrier_wait -1
	global_inv scope:SCOPE_SE
	ds_load_b32 v3, v4
	v_add_co_u32 v0, vcc_lo, s6, v1
	s_wait_alu 0xfffd
	v_add_co_ci_u32_e64 v1, null, s7, v2, vcc_lo
	s_wait_dscnt 0x0
	global_store_b32 v[0:1], v3, off
	s_endpgm
	.section	.rodata,"a",@progbits
	.p2align	6, 0x0
	.amdhsa_kernel _Z21shuffle_rotate_kernelILj255EiEvPT0_S1_i
		.amdhsa_group_segment_fixed_size 1020
		.amdhsa_private_segment_fixed_size 0
		.amdhsa_kernarg_size 20
		.amdhsa_user_sgpr_count 2
		.amdhsa_user_sgpr_dispatch_ptr 0
		.amdhsa_user_sgpr_queue_ptr 0
		.amdhsa_user_sgpr_kernarg_segment_ptr 1
		.amdhsa_user_sgpr_dispatch_id 0
		.amdhsa_user_sgpr_private_segment_size 0
		.amdhsa_wavefront_size32 1
		.amdhsa_uses_dynamic_stack 0
		.amdhsa_enable_private_segment 0
		.amdhsa_system_sgpr_workgroup_id_x 1
		.amdhsa_system_sgpr_workgroup_id_y 0
		.amdhsa_system_sgpr_workgroup_id_z 0
		.amdhsa_system_sgpr_workgroup_info 0
		.amdhsa_system_vgpr_workitem_id 0
		.amdhsa_next_free_vgpr 7
		.amdhsa_next_free_sgpr 8
		.amdhsa_reserve_vcc 1
		.amdhsa_float_round_mode_32 0
		.amdhsa_float_round_mode_16_64 0
		.amdhsa_float_denorm_mode_32 3
		.amdhsa_float_denorm_mode_16_64 3
		.amdhsa_fp16_overflow 0
		.amdhsa_workgroup_processor_mode 1
		.amdhsa_memory_ordered 1
		.amdhsa_forward_progress 1
		.amdhsa_inst_pref_size 2
		.amdhsa_round_robin_scheduling 0
		.amdhsa_exception_fp_ieee_invalid_op 0
		.amdhsa_exception_fp_denorm_src 0
		.amdhsa_exception_fp_ieee_div_zero 0
		.amdhsa_exception_fp_ieee_overflow 0
		.amdhsa_exception_fp_ieee_underflow 0
		.amdhsa_exception_fp_ieee_inexact 0
		.amdhsa_exception_int_div_zero 0
	.end_amdhsa_kernel
	.section	.text._Z21shuffle_rotate_kernelILj255EiEvPT0_S1_i,"axG",@progbits,_Z21shuffle_rotate_kernelILj255EiEvPT0_S1_i,comdat
.Lfunc_end26:
	.size	_Z21shuffle_rotate_kernelILj255EiEvPT0_S1_i, .Lfunc_end26-_Z21shuffle_rotate_kernelILj255EiEvPT0_S1_i
                                        ; -- End function
	.set _Z21shuffle_rotate_kernelILj255EiEvPT0_S1_i.num_vgpr, 7
	.set _Z21shuffle_rotate_kernelILj255EiEvPT0_S1_i.num_agpr, 0
	.set _Z21shuffle_rotate_kernelILj255EiEvPT0_S1_i.numbered_sgpr, 8
	.set _Z21shuffle_rotate_kernelILj255EiEvPT0_S1_i.num_named_barrier, 0
	.set _Z21shuffle_rotate_kernelILj255EiEvPT0_S1_i.private_seg_size, 0
	.set _Z21shuffle_rotate_kernelILj255EiEvPT0_S1_i.uses_vcc, 1
	.set _Z21shuffle_rotate_kernelILj255EiEvPT0_S1_i.uses_flat_scratch, 0
	.set _Z21shuffle_rotate_kernelILj255EiEvPT0_S1_i.has_dyn_sized_stack, 0
	.set _Z21shuffle_rotate_kernelILj255EiEvPT0_S1_i.has_recursion, 0
	.set _Z21shuffle_rotate_kernelILj255EiEvPT0_S1_i.has_indirect_call, 0
	.section	.AMDGPU.csdata,"",@progbits
; Kernel info:
; codeLenInByte = 224
; TotalNumSgprs: 10
; NumVgprs: 7
; ScratchSize: 0
; MemoryBound: 0
; FloatMode: 240
; IeeeMode: 1
; LDSByteSize: 1020 bytes/workgroup (compile time only)
; SGPRBlocks: 0
; VGPRBlocks: 0
; NumSGPRsForWavesPerEU: 10
; NumVGPRsForWavesPerEU: 7
; Occupancy: 16
; WaveLimiterHint : 0
; COMPUTE_PGM_RSRC2:SCRATCH_EN: 0
; COMPUTE_PGM_RSRC2:USER_SGPR: 2
; COMPUTE_PGM_RSRC2:TRAP_HANDLER: 0
; COMPUTE_PGM_RSRC2:TGID_X_EN: 1
; COMPUTE_PGM_RSRC2:TGID_Y_EN: 0
; COMPUTE_PGM_RSRC2:TGID_Z_EN: 0
; COMPUTE_PGM_RSRC2:TIDIG_COMP_CNT: 0
	.section	.text._Z21shuffle_rotate_kernelILj162EiEvPT0_S1_i,"axG",@progbits,_Z21shuffle_rotate_kernelILj162EiEvPT0_S1_i,comdat
	.protected	_Z21shuffle_rotate_kernelILj162EiEvPT0_S1_i ; -- Begin function _Z21shuffle_rotate_kernelILj162EiEvPT0_S1_i
	.globl	_Z21shuffle_rotate_kernelILj162EiEvPT0_S1_i
	.p2align	8
	.type	_Z21shuffle_rotate_kernelILj162EiEvPT0_S1_i,@function
_Z21shuffle_rotate_kernelILj162EiEvPT0_S1_i: ; @_Z21shuffle_rotate_kernelILj162EiEvPT0_S1_i
; %bb.0:
	s_load_b128 s[4:7], s[0:1], 0x0
	v_mad_co_u64_u32 v[1:2], null, 0xa2, ttmp9, v[0:1]
	v_mov_b32_e32 v2, 0
	s_load_b32 s0, s[0:1], 0x10
	s_delay_alu instid0(VALU_DEP_1) | instskip(SKIP_1) | instid1(VALU_DEP_1)
	v_lshlrev_b64_e32 v[1:2], 2, v[1:2]
	s_wait_kmcnt 0x0
	v_add_co_u32 v3, vcc_lo, s4, v1
	s_delay_alu instid0(VALU_DEP_1) | instskip(SKIP_3) | instid1(VALU_DEP_2)
	v_add_co_ci_u32_e64 v4, null, s5, v2, vcc_lo
	global_load_b32 v3, v[3:4], off
	v_add_nc_u32_e32 v4, s0, v0
	v_lshlrev_b32_e32 v0, 2, v0
	v_add_nc_u32_e32 v5, 0xa2, v4
	v_cmp_gt_i32_e32 vcc_lo, 0, v4
	s_wait_alu 0xfffd
	s_delay_alu instid0(VALU_DEP_2) | instskip(SKIP_2) | instid1(VALU_DEP_2)
	v_dual_cndmask_b32 v5, v4, v5 :: v_dual_add_nc_u32 v6, 0xffffff5e, v4
	v_cmp_lt_i32_e32 vcc_lo, 0xa1, v4
	s_wait_alu 0xfffd
	v_cndmask_b32_e32 v4, v5, v6, vcc_lo
	s_delay_alu instid0(VALU_DEP_1)
	v_lshlrev_b32_e32 v4, 2, v4
	s_wait_loadcnt 0x0
	ds_store_b32 v0, v3
	s_wait_dscnt 0x0
	s_barrier_signal -1
	s_barrier_wait -1
	global_inv scope:SCOPE_SE
	ds_load_b32 v3, v4
	v_add_co_u32 v0, vcc_lo, s6, v1
	s_wait_alu 0xfffd
	v_add_co_ci_u32_e64 v1, null, s7, v2, vcc_lo
	s_wait_dscnt 0x0
	global_store_b32 v[0:1], v3, off
	s_endpgm
	.section	.rodata,"a",@progbits
	.p2align	6, 0x0
	.amdhsa_kernel _Z21shuffle_rotate_kernelILj162EiEvPT0_S1_i
		.amdhsa_group_segment_fixed_size 648
		.amdhsa_private_segment_fixed_size 0
		.amdhsa_kernarg_size 20
		.amdhsa_user_sgpr_count 2
		.amdhsa_user_sgpr_dispatch_ptr 0
		.amdhsa_user_sgpr_queue_ptr 0
		.amdhsa_user_sgpr_kernarg_segment_ptr 1
		.amdhsa_user_sgpr_dispatch_id 0
		.amdhsa_user_sgpr_private_segment_size 0
		.amdhsa_wavefront_size32 1
		.amdhsa_uses_dynamic_stack 0
		.amdhsa_enable_private_segment 0
		.amdhsa_system_sgpr_workgroup_id_x 1
		.amdhsa_system_sgpr_workgroup_id_y 0
		.amdhsa_system_sgpr_workgroup_id_z 0
		.amdhsa_system_sgpr_workgroup_info 0
		.amdhsa_system_vgpr_workitem_id 0
		.amdhsa_next_free_vgpr 7
		.amdhsa_next_free_sgpr 8
		.amdhsa_reserve_vcc 1
		.amdhsa_float_round_mode_32 0
		.amdhsa_float_round_mode_16_64 0
		.amdhsa_float_denorm_mode_32 3
		.amdhsa_float_denorm_mode_16_64 3
		.amdhsa_fp16_overflow 0
		.amdhsa_workgroup_processor_mode 1
		.amdhsa_memory_ordered 1
		.amdhsa_forward_progress 1
		.amdhsa_inst_pref_size 2
		.amdhsa_round_robin_scheduling 0
		.amdhsa_exception_fp_ieee_invalid_op 0
		.amdhsa_exception_fp_denorm_src 0
		.amdhsa_exception_fp_ieee_div_zero 0
		.amdhsa_exception_fp_ieee_overflow 0
		.amdhsa_exception_fp_ieee_underflow 0
		.amdhsa_exception_fp_ieee_inexact 0
		.amdhsa_exception_int_div_zero 0
	.end_amdhsa_kernel
	.section	.text._Z21shuffle_rotate_kernelILj162EiEvPT0_S1_i,"axG",@progbits,_Z21shuffle_rotate_kernelILj162EiEvPT0_S1_i,comdat
.Lfunc_end27:
	.size	_Z21shuffle_rotate_kernelILj162EiEvPT0_S1_i, .Lfunc_end27-_Z21shuffle_rotate_kernelILj162EiEvPT0_S1_i
                                        ; -- End function
	.set _Z21shuffle_rotate_kernelILj162EiEvPT0_S1_i.num_vgpr, 7
	.set _Z21shuffle_rotate_kernelILj162EiEvPT0_S1_i.num_agpr, 0
	.set _Z21shuffle_rotate_kernelILj162EiEvPT0_S1_i.numbered_sgpr, 8
	.set _Z21shuffle_rotate_kernelILj162EiEvPT0_S1_i.num_named_barrier, 0
	.set _Z21shuffle_rotate_kernelILj162EiEvPT0_S1_i.private_seg_size, 0
	.set _Z21shuffle_rotate_kernelILj162EiEvPT0_S1_i.uses_vcc, 1
	.set _Z21shuffle_rotate_kernelILj162EiEvPT0_S1_i.uses_flat_scratch, 0
	.set _Z21shuffle_rotate_kernelILj162EiEvPT0_S1_i.has_dyn_sized_stack, 0
	.set _Z21shuffle_rotate_kernelILj162EiEvPT0_S1_i.has_recursion, 0
	.set _Z21shuffle_rotate_kernelILj162EiEvPT0_S1_i.has_indirect_call, 0
	.section	.AMDGPU.csdata,"",@progbits
; Kernel info:
; codeLenInByte = 224
; TotalNumSgprs: 10
; NumVgprs: 7
; ScratchSize: 0
; MemoryBound: 0
; FloatMode: 240
; IeeeMode: 1
; LDSByteSize: 648 bytes/workgroup (compile time only)
; SGPRBlocks: 0
; VGPRBlocks: 0
; NumSGPRsForWavesPerEU: 10
; NumVGPRsForWavesPerEU: 7
; Occupancy: 16
; WaveLimiterHint : 0
; COMPUTE_PGM_RSRC2:SCRATCH_EN: 0
; COMPUTE_PGM_RSRC2:USER_SGPR: 2
; COMPUTE_PGM_RSRC2:TRAP_HANDLER: 0
; COMPUTE_PGM_RSRC2:TGID_X_EN: 1
; COMPUTE_PGM_RSRC2:TGID_Y_EN: 0
; COMPUTE_PGM_RSRC2:TGID_Z_EN: 0
; COMPUTE_PGM_RSRC2:TIDIG_COMP_CNT: 0
	.section	.text._Z21shuffle_rotate_kernelILj37EiEvPT0_S1_i,"axG",@progbits,_Z21shuffle_rotate_kernelILj37EiEvPT0_S1_i,comdat
	.protected	_Z21shuffle_rotate_kernelILj37EiEvPT0_S1_i ; -- Begin function _Z21shuffle_rotate_kernelILj37EiEvPT0_S1_i
	.globl	_Z21shuffle_rotate_kernelILj37EiEvPT0_S1_i
	.p2align	8
	.type	_Z21shuffle_rotate_kernelILj37EiEvPT0_S1_i,@function
_Z21shuffle_rotate_kernelILj37EiEvPT0_S1_i: ; @_Z21shuffle_rotate_kernelILj37EiEvPT0_S1_i
; %bb.0:
	s_load_b128 s[4:7], s[0:1], 0x0
	v_mad_co_u64_u32 v[1:2], null, ttmp9, 37, v[0:1]
	v_mov_b32_e32 v2, 0
	s_load_b32 s0, s[0:1], 0x10
	s_delay_alu instid0(VALU_DEP_1) | instskip(SKIP_1) | instid1(VALU_DEP_1)
	v_lshlrev_b64_e32 v[1:2], 2, v[1:2]
	s_wait_kmcnt 0x0
	v_add_co_u32 v3, vcc_lo, s4, v1
	s_delay_alu instid0(VALU_DEP_1) | instskip(SKIP_3) | instid1(VALU_DEP_2)
	v_add_co_ci_u32_e64 v4, null, s5, v2, vcc_lo
	global_load_b32 v3, v[3:4], off
	v_add_nc_u32_e32 v4, s0, v0
	v_lshlrev_b32_e32 v0, 2, v0
	v_add_nc_u32_e32 v5, 37, v4
	v_cmp_gt_i32_e32 vcc_lo, 0, v4
	v_subrev_nc_u32_e32 v6, 37, v4
	s_wait_alu 0xfffd
	s_delay_alu instid0(VALU_DEP_3) | instskip(SKIP_2) | instid1(VALU_DEP_2)
	v_cndmask_b32_e32 v5, v4, v5, vcc_lo
	v_cmp_lt_i32_e32 vcc_lo, 36, v4
	s_wait_alu 0xfffd
	v_cndmask_b32_e32 v4, v5, v6, vcc_lo
	s_delay_alu instid0(VALU_DEP_1)
	v_lshlrev_b32_e32 v4, 2, v4
	s_wait_loadcnt 0x0
	ds_store_b32 v0, v3
	s_wait_dscnt 0x0
	s_barrier_signal -1
	s_barrier_wait -1
	global_inv scope:SCOPE_SE
	ds_load_b32 v3, v4
	v_add_co_u32 v0, vcc_lo, s6, v1
	s_wait_alu 0xfffd
	v_add_co_ci_u32_e64 v1, null, s7, v2, vcc_lo
	s_wait_dscnt 0x0
	global_store_b32 v[0:1], v3, off
	s_endpgm
	.section	.rodata,"a",@progbits
	.p2align	6, 0x0
	.amdhsa_kernel _Z21shuffle_rotate_kernelILj37EiEvPT0_S1_i
		.amdhsa_group_segment_fixed_size 148
		.amdhsa_private_segment_fixed_size 0
		.amdhsa_kernarg_size 20
		.amdhsa_user_sgpr_count 2
		.amdhsa_user_sgpr_dispatch_ptr 0
		.amdhsa_user_sgpr_queue_ptr 0
		.amdhsa_user_sgpr_kernarg_segment_ptr 1
		.amdhsa_user_sgpr_dispatch_id 0
		.amdhsa_user_sgpr_private_segment_size 0
		.amdhsa_wavefront_size32 1
		.amdhsa_uses_dynamic_stack 0
		.amdhsa_enable_private_segment 0
		.amdhsa_system_sgpr_workgroup_id_x 1
		.amdhsa_system_sgpr_workgroup_id_y 0
		.amdhsa_system_sgpr_workgroup_id_z 0
		.amdhsa_system_sgpr_workgroup_info 0
		.amdhsa_system_vgpr_workitem_id 0
		.amdhsa_next_free_vgpr 7
		.amdhsa_next_free_sgpr 8
		.amdhsa_reserve_vcc 1
		.amdhsa_float_round_mode_32 0
		.amdhsa_float_round_mode_16_64 0
		.amdhsa_float_denorm_mode_32 3
		.amdhsa_float_denorm_mode_16_64 3
		.amdhsa_fp16_overflow 0
		.amdhsa_workgroup_processor_mode 1
		.amdhsa_memory_ordered 1
		.amdhsa_forward_progress 1
		.amdhsa_inst_pref_size 2
		.amdhsa_round_robin_scheduling 0
		.amdhsa_exception_fp_ieee_invalid_op 0
		.amdhsa_exception_fp_denorm_src 0
		.amdhsa_exception_fp_ieee_div_zero 0
		.amdhsa_exception_fp_ieee_overflow 0
		.amdhsa_exception_fp_ieee_underflow 0
		.amdhsa_exception_fp_ieee_inexact 0
		.amdhsa_exception_int_div_zero 0
	.end_amdhsa_kernel
	.section	.text._Z21shuffle_rotate_kernelILj37EiEvPT0_S1_i,"axG",@progbits,_Z21shuffle_rotate_kernelILj37EiEvPT0_S1_i,comdat
.Lfunc_end28:
	.size	_Z21shuffle_rotate_kernelILj37EiEvPT0_S1_i, .Lfunc_end28-_Z21shuffle_rotate_kernelILj37EiEvPT0_S1_i
                                        ; -- End function
	.set _Z21shuffle_rotate_kernelILj37EiEvPT0_S1_i.num_vgpr, 7
	.set _Z21shuffle_rotate_kernelILj37EiEvPT0_S1_i.num_agpr, 0
	.set _Z21shuffle_rotate_kernelILj37EiEvPT0_S1_i.numbered_sgpr, 8
	.set _Z21shuffle_rotate_kernelILj37EiEvPT0_S1_i.num_named_barrier, 0
	.set _Z21shuffle_rotate_kernelILj37EiEvPT0_S1_i.private_seg_size, 0
	.set _Z21shuffle_rotate_kernelILj37EiEvPT0_S1_i.uses_vcc, 1
	.set _Z21shuffle_rotate_kernelILj37EiEvPT0_S1_i.uses_flat_scratch, 0
	.set _Z21shuffle_rotate_kernelILj37EiEvPT0_S1_i.has_dyn_sized_stack, 0
	.set _Z21shuffle_rotate_kernelILj37EiEvPT0_S1_i.has_recursion, 0
	.set _Z21shuffle_rotate_kernelILj37EiEvPT0_S1_i.has_indirect_call, 0
	.section	.AMDGPU.csdata,"",@progbits
; Kernel info:
; codeLenInByte = 208
; TotalNumSgprs: 10
; NumVgprs: 7
; ScratchSize: 0
; MemoryBound: 0
; FloatMode: 240
; IeeeMode: 1
; LDSByteSize: 148 bytes/workgroup (compile time only)
; SGPRBlocks: 0
; VGPRBlocks: 0
; NumSGPRsForWavesPerEU: 10
; NumVGPRsForWavesPerEU: 7
; Occupancy: 16
; WaveLimiterHint : 0
; COMPUTE_PGM_RSRC2:SCRATCH_EN: 0
; COMPUTE_PGM_RSRC2:USER_SGPR: 2
; COMPUTE_PGM_RSRC2:TRAP_HANDLER: 0
; COMPUTE_PGM_RSRC2:TGID_X_EN: 1
; COMPUTE_PGM_RSRC2:TGID_Y_EN: 0
; COMPUTE_PGM_RSRC2:TGID_Z_EN: 0
; COMPUTE_PGM_RSRC2:TIDIG_COMP_CNT: 0
	.section	.text._Z21shuffle_rotate_kernelILj65EiEvPT0_S1_i,"axG",@progbits,_Z21shuffle_rotate_kernelILj65EiEvPT0_S1_i,comdat
	.protected	_Z21shuffle_rotate_kernelILj65EiEvPT0_S1_i ; -- Begin function _Z21shuffle_rotate_kernelILj65EiEvPT0_S1_i
	.globl	_Z21shuffle_rotate_kernelILj65EiEvPT0_S1_i
	.p2align	8
	.type	_Z21shuffle_rotate_kernelILj65EiEvPT0_S1_i,@function
_Z21shuffle_rotate_kernelILj65EiEvPT0_S1_i: ; @_Z21shuffle_rotate_kernelILj65EiEvPT0_S1_i
; %bb.0:
	s_load_b128 s[4:7], s[0:1], 0x0
	v_mad_co_u64_u32 v[1:2], null, 0x41, ttmp9, v[0:1]
	v_mov_b32_e32 v2, 0
	s_load_b32 s0, s[0:1], 0x10
	s_delay_alu instid0(VALU_DEP_1) | instskip(SKIP_1) | instid1(VALU_DEP_1)
	v_lshlrev_b64_e32 v[1:2], 2, v[1:2]
	s_wait_kmcnt 0x0
	v_add_co_u32 v3, vcc_lo, s4, v1
	s_delay_alu instid0(VALU_DEP_1) | instskip(SKIP_3) | instid1(VALU_DEP_2)
	v_add_co_ci_u32_e64 v4, null, s5, v2, vcc_lo
	global_load_b32 v3, v[3:4], off
	v_add_nc_u32_e32 v4, s0, v0
	v_lshlrev_b32_e32 v0, 2, v0
	v_add_nc_u32_e32 v5, 0x41, v4
	v_cmp_gt_i32_e32 vcc_lo, 0, v4
	s_wait_alu 0xfffd
	s_delay_alu instid0(VALU_DEP_2) | instskip(SKIP_2) | instid1(VALU_DEP_2)
	v_dual_cndmask_b32 v5, v4, v5 :: v_dual_add_nc_u32 v6, 0xffffffbf, v4
	v_cmp_lt_i32_e32 vcc_lo, 64, v4
	s_wait_alu 0xfffd
	v_cndmask_b32_e32 v4, v5, v6, vcc_lo
	s_delay_alu instid0(VALU_DEP_1)
	v_lshlrev_b32_e32 v4, 2, v4
	s_wait_loadcnt 0x0
	ds_store_b32 v0, v3
	s_wait_dscnt 0x0
	s_barrier_signal -1
	s_barrier_wait -1
	global_inv scope:SCOPE_SE
	ds_load_b32 v3, v4
	v_add_co_u32 v0, vcc_lo, s6, v1
	s_wait_alu 0xfffd
	v_add_co_ci_u32_e64 v1, null, s7, v2, vcc_lo
	s_wait_dscnt 0x0
	global_store_b32 v[0:1], v3, off
	s_endpgm
	.section	.rodata,"a",@progbits
	.p2align	6, 0x0
	.amdhsa_kernel _Z21shuffle_rotate_kernelILj65EiEvPT0_S1_i
		.amdhsa_group_segment_fixed_size 260
		.amdhsa_private_segment_fixed_size 0
		.amdhsa_kernarg_size 20
		.amdhsa_user_sgpr_count 2
		.amdhsa_user_sgpr_dispatch_ptr 0
		.amdhsa_user_sgpr_queue_ptr 0
		.amdhsa_user_sgpr_kernarg_segment_ptr 1
		.amdhsa_user_sgpr_dispatch_id 0
		.amdhsa_user_sgpr_private_segment_size 0
		.amdhsa_wavefront_size32 1
		.amdhsa_uses_dynamic_stack 0
		.amdhsa_enable_private_segment 0
		.amdhsa_system_sgpr_workgroup_id_x 1
		.amdhsa_system_sgpr_workgroup_id_y 0
		.amdhsa_system_sgpr_workgroup_id_z 0
		.amdhsa_system_sgpr_workgroup_info 0
		.amdhsa_system_vgpr_workitem_id 0
		.amdhsa_next_free_vgpr 7
		.amdhsa_next_free_sgpr 8
		.amdhsa_reserve_vcc 1
		.amdhsa_float_round_mode_32 0
		.amdhsa_float_round_mode_16_64 0
		.amdhsa_float_denorm_mode_32 3
		.amdhsa_float_denorm_mode_16_64 3
		.amdhsa_fp16_overflow 0
		.amdhsa_workgroup_processor_mode 1
		.amdhsa_memory_ordered 1
		.amdhsa_forward_progress 1
		.amdhsa_inst_pref_size 2
		.amdhsa_round_robin_scheduling 0
		.amdhsa_exception_fp_ieee_invalid_op 0
		.amdhsa_exception_fp_denorm_src 0
		.amdhsa_exception_fp_ieee_div_zero 0
		.amdhsa_exception_fp_ieee_overflow 0
		.amdhsa_exception_fp_ieee_underflow 0
		.amdhsa_exception_fp_ieee_inexact 0
		.amdhsa_exception_int_div_zero 0
	.end_amdhsa_kernel
	.section	.text._Z21shuffle_rotate_kernelILj65EiEvPT0_S1_i,"axG",@progbits,_Z21shuffle_rotate_kernelILj65EiEvPT0_S1_i,comdat
.Lfunc_end29:
	.size	_Z21shuffle_rotate_kernelILj65EiEvPT0_S1_i, .Lfunc_end29-_Z21shuffle_rotate_kernelILj65EiEvPT0_S1_i
                                        ; -- End function
	.set _Z21shuffle_rotate_kernelILj65EiEvPT0_S1_i.num_vgpr, 7
	.set _Z21shuffle_rotate_kernelILj65EiEvPT0_S1_i.num_agpr, 0
	.set _Z21shuffle_rotate_kernelILj65EiEvPT0_S1_i.numbered_sgpr, 8
	.set _Z21shuffle_rotate_kernelILj65EiEvPT0_S1_i.num_named_barrier, 0
	.set _Z21shuffle_rotate_kernelILj65EiEvPT0_S1_i.private_seg_size, 0
	.set _Z21shuffle_rotate_kernelILj65EiEvPT0_S1_i.uses_vcc, 1
	.set _Z21shuffle_rotate_kernelILj65EiEvPT0_S1_i.uses_flat_scratch, 0
	.set _Z21shuffle_rotate_kernelILj65EiEvPT0_S1_i.has_dyn_sized_stack, 0
	.set _Z21shuffle_rotate_kernelILj65EiEvPT0_S1_i.has_recursion, 0
	.set _Z21shuffle_rotate_kernelILj65EiEvPT0_S1_i.has_indirect_call, 0
	.section	.AMDGPU.csdata,"",@progbits
; Kernel info:
; codeLenInByte = 220
; TotalNumSgprs: 10
; NumVgprs: 7
; ScratchSize: 0
; MemoryBound: 0
; FloatMode: 240
; IeeeMode: 1
; LDSByteSize: 260 bytes/workgroup (compile time only)
; SGPRBlocks: 0
; VGPRBlocks: 0
; NumSGPRsForWavesPerEU: 10
; NumVGPRsForWavesPerEU: 7
; Occupancy: 16
; WaveLimiterHint : 0
; COMPUTE_PGM_RSRC2:SCRATCH_EN: 0
; COMPUTE_PGM_RSRC2:USER_SGPR: 2
; COMPUTE_PGM_RSRC2:TRAP_HANDLER: 0
; COMPUTE_PGM_RSRC2:TGID_X_EN: 1
; COMPUTE_PGM_RSRC2:TGID_Y_EN: 0
; COMPUTE_PGM_RSRC2:TGID_Z_EN: 0
; COMPUTE_PGM_RSRC2:TIDIG_COMP_CNT: 0
	.section	.text._Z21shuffle_rotate_kernelILj512EiEvPT0_S1_i,"axG",@progbits,_Z21shuffle_rotate_kernelILj512EiEvPT0_S1_i,comdat
	.protected	_Z21shuffle_rotate_kernelILj512EiEvPT0_S1_i ; -- Begin function _Z21shuffle_rotate_kernelILj512EiEvPT0_S1_i
	.globl	_Z21shuffle_rotate_kernelILj512EiEvPT0_S1_i
	.p2align	8
	.type	_Z21shuffle_rotate_kernelILj512EiEvPT0_S1_i,@function
_Z21shuffle_rotate_kernelILj512EiEvPT0_S1_i: ; @_Z21shuffle_rotate_kernelILj512EiEvPT0_S1_i
; %bb.0:
	s_load_b128 s[4:7], s[0:1], 0x0
	v_mov_b32_e32 v2, 0
	v_lshl_or_b32 v1, ttmp9, 9, v0
	s_load_b32 s0, s[0:1], 0x10
	s_delay_alu instid0(VALU_DEP_1) | instskip(SKIP_1) | instid1(VALU_DEP_1)
	v_lshlrev_b64_e32 v[1:2], 2, v[1:2]
	s_wait_kmcnt 0x0
	v_add_co_u32 v3, vcc_lo, s4, v1
	s_delay_alu instid0(VALU_DEP_1) | instskip(SKIP_4) | instid1(VALU_DEP_2)
	v_add_co_ci_u32_e64 v4, null, s5, v2, vcc_lo
	global_load_b32 v3, v[3:4], off
	v_add_nc_u32_e32 v4, s0, v0
	v_lshlrev_b32_e32 v0, 2, v0
	s_lshl_b32 s0, s0, 2
	v_lshrrev_b32_e32 v5, 22, v4
	v_cmp_gt_i32_e32 vcc_lo, 0x200, v4
	s_delay_alu instid0(VALU_DEP_2) | instskip(SKIP_1) | instid1(VALU_DEP_1)
	v_and_b32_e32 v5, 0x200, v5
	s_wait_alu 0xfffd
	v_cndmask_b32_e32 v4, 0xfffffe00, v5, vcc_lo
	s_delay_alu instid0(VALU_DEP_1) | instskip(SKIP_1) | instid1(VALU_DEP_1)
	v_lshlrev_b32_e32 v4, 2, v4
	s_wait_alu 0xfffe
	v_add3_u32 v4, v0, s0, v4
	s_wait_loadcnt 0x0
	ds_store_b32 v0, v3
	s_wait_dscnt 0x0
	s_barrier_signal -1
	s_barrier_wait -1
	global_inv scope:SCOPE_SE
	ds_load_b32 v3, v4
	v_add_co_u32 v0, vcc_lo, s6, v1
	s_wait_alu 0xfffd
	v_add_co_ci_u32_e64 v1, null, s7, v2, vcc_lo
	s_wait_dscnt 0x0
	global_store_b32 v[0:1], v3, off
	s_endpgm
	.section	.rodata,"a",@progbits
	.p2align	6, 0x0
	.amdhsa_kernel _Z21shuffle_rotate_kernelILj512EiEvPT0_S1_i
		.amdhsa_group_segment_fixed_size 2048
		.amdhsa_private_segment_fixed_size 0
		.amdhsa_kernarg_size 20
		.amdhsa_user_sgpr_count 2
		.amdhsa_user_sgpr_dispatch_ptr 0
		.amdhsa_user_sgpr_queue_ptr 0
		.amdhsa_user_sgpr_kernarg_segment_ptr 1
		.amdhsa_user_sgpr_dispatch_id 0
		.amdhsa_user_sgpr_private_segment_size 0
		.amdhsa_wavefront_size32 1
		.amdhsa_uses_dynamic_stack 0
		.amdhsa_enable_private_segment 0
		.amdhsa_system_sgpr_workgroup_id_x 1
		.amdhsa_system_sgpr_workgroup_id_y 0
		.amdhsa_system_sgpr_workgroup_id_z 0
		.amdhsa_system_sgpr_workgroup_info 0
		.amdhsa_system_vgpr_workitem_id 0
		.amdhsa_next_free_vgpr 6
		.amdhsa_next_free_sgpr 8
		.amdhsa_reserve_vcc 1
		.amdhsa_float_round_mode_32 0
		.amdhsa_float_round_mode_16_64 0
		.amdhsa_float_denorm_mode_32 3
		.amdhsa_float_denorm_mode_16_64 3
		.amdhsa_fp16_overflow 0
		.amdhsa_workgroup_processor_mode 1
		.amdhsa_memory_ordered 1
		.amdhsa_forward_progress 1
		.amdhsa_inst_pref_size 2
		.amdhsa_round_robin_scheduling 0
		.amdhsa_exception_fp_ieee_invalid_op 0
		.amdhsa_exception_fp_denorm_src 0
		.amdhsa_exception_fp_ieee_div_zero 0
		.amdhsa_exception_fp_ieee_overflow 0
		.amdhsa_exception_fp_ieee_underflow 0
		.amdhsa_exception_fp_ieee_inexact 0
		.amdhsa_exception_int_div_zero 0
	.end_amdhsa_kernel
	.section	.text._Z21shuffle_rotate_kernelILj512EiEvPT0_S1_i,"axG",@progbits,_Z21shuffle_rotate_kernelILj512EiEvPT0_S1_i,comdat
.Lfunc_end30:
	.size	_Z21shuffle_rotate_kernelILj512EiEvPT0_S1_i, .Lfunc_end30-_Z21shuffle_rotate_kernelILj512EiEvPT0_S1_i
                                        ; -- End function
	.set _Z21shuffle_rotate_kernelILj512EiEvPT0_S1_i.num_vgpr, 6
	.set _Z21shuffle_rotate_kernelILj512EiEvPT0_S1_i.num_agpr, 0
	.set _Z21shuffle_rotate_kernelILj512EiEvPT0_S1_i.numbered_sgpr, 8
	.set _Z21shuffle_rotate_kernelILj512EiEvPT0_S1_i.num_named_barrier, 0
	.set _Z21shuffle_rotate_kernelILj512EiEvPT0_S1_i.private_seg_size, 0
	.set _Z21shuffle_rotate_kernelILj512EiEvPT0_S1_i.uses_vcc, 1
	.set _Z21shuffle_rotate_kernelILj512EiEvPT0_S1_i.uses_flat_scratch, 0
	.set _Z21shuffle_rotate_kernelILj512EiEvPT0_S1_i.has_dyn_sized_stack, 0
	.set _Z21shuffle_rotate_kernelILj512EiEvPT0_S1_i.has_recursion, 0
	.set _Z21shuffle_rotate_kernelILj512EiEvPT0_S1_i.has_indirect_call, 0
	.section	.AMDGPU.csdata,"",@progbits
; Kernel info:
; codeLenInByte = 224
; TotalNumSgprs: 10
; NumVgprs: 6
; ScratchSize: 0
; MemoryBound: 0
; FloatMode: 240
; IeeeMode: 1
; LDSByteSize: 2048 bytes/workgroup (compile time only)
; SGPRBlocks: 0
; VGPRBlocks: 0
; NumSGPRsForWavesPerEU: 10
; NumVGPRsForWavesPerEU: 6
; Occupancy: 16
; WaveLimiterHint : 0
; COMPUTE_PGM_RSRC2:SCRATCH_EN: 0
; COMPUTE_PGM_RSRC2:USER_SGPR: 2
; COMPUTE_PGM_RSRC2:TRAP_HANDLER: 0
; COMPUTE_PGM_RSRC2:TGID_X_EN: 1
; COMPUTE_PGM_RSRC2:TGID_Y_EN: 0
; COMPUTE_PGM_RSRC2:TGID_Z_EN: 0
; COMPUTE_PGM_RSRC2:TIDIG_COMP_CNT: 0
	.section	.text._Z21shuffle_rotate_kernelILj256EiEvPT0_S1_i,"axG",@progbits,_Z21shuffle_rotate_kernelILj256EiEvPT0_S1_i,comdat
	.protected	_Z21shuffle_rotate_kernelILj256EiEvPT0_S1_i ; -- Begin function _Z21shuffle_rotate_kernelILj256EiEvPT0_S1_i
	.globl	_Z21shuffle_rotate_kernelILj256EiEvPT0_S1_i
	.p2align	8
	.type	_Z21shuffle_rotate_kernelILj256EiEvPT0_S1_i,@function
_Z21shuffle_rotate_kernelILj256EiEvPT0_S1_i: ; @_Z21shuffle_rotate_kernelILj256EiEvPT0_S1_i
; %bb.0:
	s_load_b128 s[4:7], s[0:1], 0x0
	v_mov_b32_e32 v2, 0
	v_lshl_or_b32 v1, ttmp9, 8, v0
	s_load_b32 s0, s[0:1], 0x10
	s_delay_alu instid0(VALU_DEP_1) | instskip(SKIP_1) | instid1(VALU_DEP_1)
	v_lshlrev_b64_e32 v[1:2], 2, v[1:2]
	s_wait_kmcnt 0x0
	v_add_co_u32 v3, vcc_lo, s4, v1
	s_delay_alu instid0(VALU_DEP_1) | instskip(SKIP_4) | instid1(VALU_DEP_2)
	v_add_co_ci_u32_e64 v4, null, s5, v2, vcc_lo
	global_load_b32 v3, v[3:4], off
	v_add_nc_u32_e32 v4, s0, v0
	v_lshlrev_b32_e32 v0, 2, v0
	s_lshl_b32 s0, s0, 2
	v_lshrrev_b32_e32 v5, 23, v4
	v_cmp_gt_i32_e32 vcc_lo, 0x100, v4
	s_delay_alu instid0(VALU_DEP_2) | instskip(SKIP_1) | instid1(VALU_DEP_1)
	v_and_b32_e32 v5, 0x100, v5
	s_wait_alu 0xfffd
	v_cndmask_b32_e32 v4, 0xffffff00, v5, vcc_lo
	s_delay_alu instid0(VALU_DEP_1) | instskip(SKIP_1) | instid1(VALU_DEP_1)
	v_lshlrev_b32_e32 v4, 2, v4
	s_wait_alu 0xfffe
	v_add3_u32 v4, v0, s0, v4
	s_wait_loadcnt 0x0
	ds_store_b32 v0, v3
	s_wait_dscnt 0x0
	s_barrier_signal -1
	s_barrier_wait -1
	global_inv scope:SCOPE_SE
	ds_load_b32 v3, v4
	v_add_co_u32 v0, vcc_lo, s6, v1
	s_wait_alu 0xfffd
	v_add_co_ci_u32_e64 v1, null, s7, v2, vcc_lo
	s_wait_dscnt 0x0
	global_store_b32 v[0:1], v3, off
	s_endpgm
	.section	.rodata,"a",@progbits
	.p2align	6, 0x0
	.amdhsa_kernel _Z21shuffle_rotate_kernelILj256EiEvPT0_S1_i
		.amdhsa_group_segment_fixed_size 1024
		.amdhsa_private_segment_fixed_size 0
		.amdhsa_kernarg_size 20
		.amdhsa_user_sgpr_count 2
		.amdhsa_user_sgpr_dispatch_ptr 0
		.amdhsa_user_sgpr_queue_ptr 0
		.amdhsa_user_sgpr_kernarg_segment_ptr 1
		.amdhsa_user_sgpr_dispatch_id 0
		.amdhsa_user_sgpr_private_segment_size 0
		.amdhsa_wavefront_size32 1
		.amdhsa_uses_dynamic_stack 0
		.amdhsa_enable_private_segment 0
		.amdhsa_system_sgpr_workgroup_id_x 1
		.amdhsa_system_sgpr_workgroup_id_y 0
		.amdhsa_system_sgpr_workgroup_id_z 0
		.amdhsa_system_sgpr_workgroup_info 0
		.amdhsa_system_vgpr_workitem_id 0
		.amdhsa_next_free_vgpr 6
		.amdhsa_next_free_sgpr 8
		.amdhsa_reserve_vcc 1
		.amdhsa_float_round_mode_32 0
		.amdhsa_float_round_mode_16_64 0
		.amdhsa_float_denorm_mode_32 3
		.amdhsa_float_denorm_mode_16_64 3
		.amdhsa_fp16_overflow 0
		.amdhsa_workgroup_processor_mode 1
		.amdhsa_memory_ordered 1
		.amdhsa_forward_progress 1
		.amdhsa_inst_pref_size 2
		.amdhsa_round_robin_scheduling 0
		.amdhsa_exception_fp_ieee_invalid_op 0
		.amdhsa_exception_fp_denorm_src 0
		.amdhsa_exception_fp_ieee_div_zero 0
		.amdhsa_exception_fp_ieee_overflow 0
		.amdhsa_exception_fp_ieee_underflow 0
		.amdhsa_exception_fp_ieee_inexact 0
		.amdhsa_exception_int_div_zero 0
	.end_amdhsa_kernel
	.section	.text._Z21shuffle_rotate_kernelILj256EiEvPT0_S1_i,"axG",@progbits,_Z21shuffle_rotate_kernelILj256EiEvPT0_S1_i,comdat
.Lfunc_end31:
	.size	_Z21shuffle_rotate_kernelILj256EiEvPT0_S1_i, .Lfunc_end31-_Z21shuffle_rotate_kernelILj256EiEvPT0_S1_i
                                        ; -- End function
	.set _Z21shuffle_rotate_kernelILj256EiEvPT0_S1_i.num_vgpr, 6
	.set _Z21shuffle_rotate_kernelILj256EiEvPT0_S1_i.num_agpr, 0
	.set _Z21shuffle_rotate_kernelILj256EiEvPT0_S1_i.numbered_sgpr, 8
	.set _Z21shuffle_rotate_kernelILj256EiEvPT0_S1_i.num_named_barrier, 0
	.set _Z21shuffle_rotate_kernelILj256EiEvPT0_S1_i.private_seg_size, 0
	.set _Z21shuffle_rotate_kernelILj256EiEvPT0_S1_i.uses_vcc, 1
	.set _Z21shuffle_rotate_kernelILj256EiEvPT0_S1_i.uses_flat_scratch, 0
	.set _Z21shuffle_rotate_kernelILj256EiEvPT0_S1_i.has_dyn_sized_stack, 0
	.set _Z21shuffle_rotate_kernelILj256EiEvPT0_S1_i.has_recursion, 0
	.set _Z21shuffle_rotate_kernelILj256EiEvPT0_S1_i.has_indirect_call, 0
	.section	.AMDGPU.csdata,"",@progbits
; Kernel info:
; codeLenInByte = 224
; TotalNumSgprs: 10
; NumVgprs: 6
; ScratchSize: 0
; MemoryBound: 0
; FloatMode: 240
; IeeeMode: 1
; LDSByteSize: 1024 bytes/workgroup (compile time only)
; SGPRBlocks: 0
; VGPRBlocks: 0
; NumSGPRsForWavesPerEU: 10
; NumVGPRsForWavesPerEU: 6
; Occupancy: 16
; WaveLimiterHint : 0
; COMPUTE_PGM_RSRC2:SCRATCH_EN: 0
; COMPUTE_PGM_RSRC2:USER_SGPR: 2
; COMPUTE_PGM_RSRC2:TRAP_HANDLER: 0
; COMPUTE_PGM_RSRC2:TGID_X_EN: 1
; COMPUTE_PGM_RSRC2:TGID_Y_EN: 0
; COMPUTE_PGM_RSRC2:TGID_Z_EN: 0
; COMPUTE_PGM_RSRC2:TIDIG_COMP_CNT: 0
	.section	.text._Z21shuffle_rotate_kernelILj128EiEvPT0_S1_i,"axG",@progbits,_Z21shuffle_rotate_kernelILj128EiEvPT0_S1_i,comdat
	.protected	_Z21shuffle_rotate_kernelILj128EiEvPT0_S1_i ; -- Begin function _Z21shuffle_rotate_kernelILj128EiEvPT0_S1_i
	.globl	_Z21shuffle_rotate_kernelILj128EiEvPT0_S1_i
	.p2align	8
	.type	_Z21shuffle_rotate_kernelILj128EiEvPT0_S1_i,@function
_Z21shuffle_rotate_kernelILj128EiEvPT0_S1_i: ; @_Z21shuffle_rotate_kernelILj128EiEvPT0_S1_i
; %bb.0:
	s_load_b128 s[4:7], s[0:1], 0x0
	v_mov_b32_e32 v2, 0
	v_lshl_or_b32 v1, ttmp9, 7, v0
	s_load_b32 s0, s[0:1], 0x10
	s_delay_alu instid0(VALU_DEP_1) | instskip(SKIP_1) | instid1(VALU_DEP_1)
	v_lshlrev_b64_e32 v[1:2], 2, v[1:2]
	s_wait_kmcnt 0x0
	v_add_co_u32 v3, vcc_lo, s4, v1
	s_delay_alu instid0(VALU_DEP_1) | instskip(SKIP_4) | instid1(VALU_DEP_2)
	v_add_co_ci_u32_e64 v4, null, s5, v2, vcc_lo
	global_load_b32 v3, v[3:4], off
	v_add_nc_u32_e32 v4, s0, v0
	v_lshlrev_b32_e32 v0, 2, v0
	s_lshl_b32 s0, s0, 2
	v_lshrrev_b32_e32 v5, 24, v4
	v_cmp_gt_i32_e32 vcc_lo, 0x80, v4
	s_delay_alu instid0(VALU_DEP_2) | instskip(SKIP_1) | instid1(VALU_DEP_1)
	v_and_b32_e32 v5, 0x80, v5
	s_wait_alu 0xfffd
	v_cndmask_b32_e32 v4, 0xffffff80, v5, vcc_lo
	s_delay_alu instid0(VALU_DEP_1) | instskip(SKIP_1) | instid1(VALU_DEP_1)
	v_lshlrev_b32_e32 v4, 2, v4
	s_wait_alu 0xfffe
	v_add3_u32 v4, v0, s0, v4
	s_wait_loadcnt 0x0
	ds_store_b32 v0, v3
	s_wait_dscnt 0x0
	s_barrier_signal -1
	s_barrier_wait -1
	global_inv scope:SCOPE_SE
	ds_load_b32 v3, v4
	v_add_co_u32 v0, vcc_lo, s6, v1
	s_wait_alu 0xfffd
	v_add_co_ci_u32_e64 v1, null, s7, v2, vcc_lo
	s_wait_dscnt 0x0
	global_store_b32 v[0:1], v3, off
	s_endpgm
	.section	.rodata,"a",@progbits
	.p2align	6, 0x0
	.amdhsa_kernel _Z21shuffle_rotate_kernelILj128EiEvPT0_S1_i
		.amdhsa_group_segment_fixed_size 512
		.amdhsa_private_segment_fixed_size 0
		.amdhsa_kernarg_size 20
		.amdhsa_user_sgpr_count 2
		.amdhsa_user_sgpr_dispatch_ptr 0
		.amdhsa_user_sgpr_queue_ptr 0
		.amdhsa_user_sgpr_kernarg_segment_ptr 1
		.amdhsa_user_sgpr_dispatch_id 0
		.amdhsa_user_sgpr_private_segment_size 0
		.amdhsa_wavefront_size32 1
		.amdhsa_uses_dynamic_stack 0
		.amdhsa_enable_private_segment 0
		.amdhsa_system_sgpr_workgroup_id_x 1
		.amdhsa_system_sgpr_workgroup_id_y 0
		.amdhsa_system_sgpr_workgroup_id_z 0
		.amdhsa_system_sgpr_workgroup_info 0
		.amdhsa_system_vgpr_workitem_id 0
		.amdhsa_next_free_vgpr 6
		.amdhsa_next_free_sgpr 8
		.amdhsa_reserve_vcc 1
		.amdhsa_float_round_mode_32 0
		.amdhsa_float_round_mode_16_64 0
		.amdhsa_float_denorm_mode_32 3
		.amdhsa_float_denorm_mode_16_64 3
		.amdhsa_fp16_overflow 0
		.amdhsa_workgroup_processor_mode 1
		.amdhsa_memory_ordered 1
		.amdhsa_forward_progress 1
		.amdhsa_inst_pref_size 2
		.amdhsa_round_robin_scheduling 0
		.amdhsa_exception_fp_ieee_invalid_op 0
		.amdhsa_exception_fp_denorm_src 0
		.amdhsa_exception_fp_ieee_div_zero 0
		.amdhsa_exception_fp_ieee_overflow 0
		.amdhsa_exception_fp_ieee_underflow 0
		.amdhsa_exception_fp_ieee_inexact 0
		.amdhsa_exception_int_div_zero 0
	.end_amdhsa_kernel
	.section	.text._Z21shuffle_rotate_kernelILj128EiEvPT0_S1_i,"axG",@progbits,_Z21shuffle_rotate_kernelILj128EiEvPT0_S1_i,comdat
.Lfunc_end32:
	.size	_Z21shuffle_rotate_kernelILj128EiEvPT0_S1_i, .Lfunc_end32-_Z21shuffle_rotate_kernelILj128EiEvPT0_S1_i
                                        ; -- End function
	.set _Z21shuffle_rotate_kernelILj128EiEvPT0_S1_i.num_vgpr, 6
	.set _Z21shuffle_rotate_kernelILj128EiEvPT0_S1_i.num_agpr, 0
	.set _Z21shuffle_rotate_kernelILj128EiEvPT0_S1_i.numbered_sgpr, 8
	.set _Z21shuffle_rotate_kernelILj128EiEvPT0_S1_i.num_named_barrier, 0
	.set _Z21shuffle_rotate_kernelILj128EiEvPT0_S1_i.private_seg_size, 0
	.set _Z21shuffle_rotate_kernelILj128EiEvPT0_S1_i.uses_vcc, 1
	.set _Z21shuffle_rotate_kernelILj128EiEvPT0_S1_i.uses_flat_scratch, 0
	.set _Z21shuffle_rotate_kernelILj128EiEvPT0_S1_i.has_dyn_sized_stack, 0
	.set _Z21shuffle_rotate_kernelILj128EiEvPT0_S1_i.has_recursion, 0
	.set _Z21shuffle_rotate_kernelILj128EiEvPT0_S1_i.has_indirect_call, 0
	.section	.AMDGPU.csdata,"",@progbits
; Kernel info:
; codeLenInByte = 224
; TotalNumSgprs: 10
; NumVgprs: 6
; ScratchSize: 0
; MemoryBound: 0
; FloatMode: 240
; IeeeMode: 1
; LDSByteSize: 512 bytes/workgroup (compile time only)
; SGPRBlocks: 0
; VGPRBlocks: 0
; NumSGPRsForWavesPerEU: 10
; NumVGPRsForWavesPerEU: 6
; Occupancy: 16
; WaveLimiterHint : 0
; COMPUTE_PGM_RSRC2:SCRATCH_EN: 0
; COMPUTE_PGM_RSRC2:USER_SGPR: 2
; COMPUTE_PGM_RSRC2:TRAP_HANDLER: 0
; COMPUTE_PGM_RSRC2:TGID_X_EN: 1
; COMPUTE_PGM_RSRC2:TGID_Y_EN: 0
; COMPUTE_PGM_RSRC2:TGID_Z_EN: 0
; COMPUTE_PGM_RSRC2:TIDIG_COMP_CNT: 0
	.section	.text._Z21shuffle_rotate_kernelILj64EiEvPT0_S1_i,"axG",@progbits,_Z21shuffle_rotate_kernelILj64EiEvPT0_S1_i,comdat
	.protected	_Z21shuffle_rotate_kernelILj64EiEvPT0_S1_i ; -- Begin function _Z21shuffle_rotate_kernelILj64EiEvPT0_S1_i
	.globl	_Z21shuffle_rotate_kernelILj64EiEvPT0_S1_i
	.p2align	8
	.type	_Z21shuffle_rotate_kernelILj64EiEvPT0_S1_i,@function
_Z21shuffle_rotate_kernelILj64EiEvPT0_S1_i: ; @_Z21shuffle_rotate_kernelILj64EiEvPT0_S1_i
; %bb.0:
	s_load_b128 s[4:7], s[0:1], 0x0
	v_mov_b32_e32 v2, 0
	v_lshl_or_b32 v1, ttmp9, 6, v0
	s_load_b32 s0, s[0:1], 0x10
	s_delay_alu instid0(VALU_DEP_1) | instskip(SKIP_1) | instid1(VALU_DEP_1)
	v_lshlrev_b64_e32 v[1:2], 2, v[1:2]
	s_wait_kmcnt 0x0
	v_add_co_u32 v3, vcc_lo, s4, v1
	s_delay_alu instid0(VALU_DEP_1) | instskip(SKIP_4) | instid1(VALU_DEP_2)
	v_add_co_ci_u32_e64 v4, null, s5, v2, vcc_lo
	global_load_b32 v3, v[3:4], off
	v_add_nc_u32_e32 v4, s0, v0
	v_lshlrev_b32_e32 v0, 2, v0
	s_lshl_b32 s0, s0, 2
	v_lshrrev_b32_e32 v5, 25, v4
	v_cmp_gt_i32_e32 vcc_lo, 64, v4
	s_delay_alu instid0(VALU_DEP_2) | instskip(SKIP_1) | instid1(VALU_DEP_1)
	v_and_b32_e32 v5, 64, v5
	s_wait_alu 0xfffd
	v_cndmask_b32_e32 v4, 0xffffffc0, v5, vcc_lo
	s_delay_alu instid0(VALU_DEP_1) | instskip(SKIP_1) | instid1(VALU_DEP_1)
	v_lshlrev_b32_e32 v4, 2, v4
	s_wait_alu 0xfffe
	v_add3_u32 v4, v0, s0, v4
	s_wait_loadcnt 0x0
	ds_store_b32 v0, v3
	s_wait_dscnt 0x0
	s_barrier_signal -1
	s_barrier_wait -1
	global_inv scope:SCOPE_SE
	ds_load_b32 v3, v4
	v_add_co_u32 v0, vcc_lo, s6, v1
	s_wait_alu 0xfffd
	v_add_co_ci_u32_e64 v1, null, s7, v2, vcc_lo
	s_wait_dscnt 0x0
	global_store_b32 v[0:1], v3, off
	s_endpgm
	.section	.rodata,"a",@progbits
	.p2align	6, 0x0
	.amdhsa_kernel _Z21shuffle_rotate_kernelILj64EiEvPT0_S1_i
		.amdhsa_group_segment_fixed_size 256
		.amdhsa_private_segment_fixed_size 0
		.amdhsa_kernarg_size 20
		.amdhsa_user_sgpr_count 2
		.amdhsa_user_sgpr_dispatch_ptr 0
		.amdhsa_user_sgpr_queue_ptr 0
		.amdhsa_user_sgpr_kernarg_segment_ptr 1
		.amdhsa_user_sgpr_dispatch_id 0
		.amdhsa_user_sgpr_private_segment_size 0
		.amdhsa_wavefront_size32 1
		.amdhsa_uses_dynamic_stack 0
		.amdhsa_enable_private_segment 0
		.amdhsa_system_sgpr_workgroup_id_x 1
		.amdhsa_system_sgpr_workgroup_id_y 0
		.amdhsa_system_sgpr_workgroup_id_z 0
		.amdhsa_system_sgpr_workgroup_info 0
		.amdhsa_system_vgpr_workitem_id 0
		.amdhsa_next_free_vgpr 6
		.amdhsa_next_free_sgpr 8
		.amdhsa_reserve_vcc 1
		.amdhsa_float_round_mode_32 0
		.amdhsa_float_round_mode_16_64 0
		.amdhsa_float_denorm_mode_32 3
		.amdhsa_float_denorm_mode_16_64 3
		.amdhsa_fp16_overflow 0
		.amdhsa_workgroup_processor_mode 1
		.amdhsa_memory_ordered 1
		.amdhsa_forward_progress 1
		.amdhsa_inst_pref_size 2
		.amdhsa_round_robin_scheduling 0
		.amdhsa_exception_fp_ieee_invalid_op 0
		.amdhsa_exception_fp_denorm_src 0
		.amdhsa_exception_fp_ieee_div_zero 0
		.amdhsa_exception_fp_ieee_overflow 0
		.amdhsa_exception_fp_ieee_underflow 0
		.amdhsa_exception_fp_ieee_inexact 0
		.amdhsa_exception_int_div_zero 0
	.end_amdhsa_kernel
	.section	.text._Z21shuffle_rotate_kernelILj64EiEvPT0_S1_i,"axG",@progbits,_Z21shuffle_rotate_kernelILj64EiEvPT0_S1_i,comdat
.Lfunc_end33:
	.size	_Z21shuffle_rotate_kernelILj64EiEvPT0_S1_i, .Lfunc_end33-_Z21shuffle_rotate_kernelILj64EiEvPT0_S1_i
                                        ; -- End function
	.set _Z21shuffle_rotate_kernelILj64EiEvPT0_S1_i.num_vgpr, 6
	.set _Z21shuffle_rotate_kernelILj64EiEvPT0_S1_i.num_agpr, 0
	.set _Z21shuffle_rotate_kernelILj64EiEvPT0_S1_i.numbered_sgpr, 8
	.set _Z21shuffle_rotate_kernelILj64EiEvPT0_S1_i.num_named_barrier, 0
	.set _Z21shuffle_rotate_kernelILj64EiEvPT0_S1_i.private_seg_size, 0
	.set _Z21shuffle_rotate_kernelILj64EiEvPT0_S1_i.uses_vcc, 1
	.set _Z21shuffle_rotate_kernelILj64EiEvPT0_S1_i.uses_flat_scratch, 0
	.set _Z21shuffle_rotate_kernelILj64EiEvPT0_S1_i.has_dyn_sized_stack, 0
	.set _Z21shuffle_rotate_kernelILj64EiEvPT0_S1_i.has_recursion, 0
	.set _Z21shuffle_rotate_kernelILj64EiEvPT0_S1_i.has_indirect_call, 0
	.section	.AMDGPU.csdata,"",@progbits
; Kernel info:
; codeLenInByte = 216
; TotalNumSgprs: 10
; NumVgprs: 6
; ScratchSize: 0
; MemoryBound: 0
; FloatMode: 240
; IeeeMode: 1
; LDSByteSize: 256 bytes/workgroup (compile time only)
; SGPRBlocks: 0
; VGPRBlocks: 0
; NumSGPRsForWavesPerEU: 10
; NumVGPRsForWavesPerEU: 6
; Occupancy: 16
; WaveLimiterHint : 0
; COMPUTE_PGM_RSRC2:SCRATCH_EN: 0
; COMPUTE_PGM_RSRC2:USER_SGPR: 2
; COMPUTE_PGM_RSRC2:TRAP_HANDLER: 0
; COMPUTE_PGM_RSRC2:TGID_X_EN: 1
; COMPUTE_PGM_RSRC2:TGID_Y_EN: 0
; COMPUTE_PGM_RSRC2:TGID_Z_EN: 0
; COMPUTE_PGM_RSRC2:TIDIG_COMP_CNT: 0
	.section	.text._Z17shuffle_up_kernelILj32ELj128E12hip_bfloat16EvPT1_S2_,"axG",@progbits,_Z17shuffle_up_kernelILj32ELj128E12hip_bfloat16EvPT1_S2_,comdat
	.protected	_Z17shuffle_up_kernelILj32ELj128E12hip_bfloat16EvPT1_S2_ ; -- Begin function _Z17shuffle_up_kernelILj32ELj128E12hip_bfloat16EvPT1_S2_
	.globl	_Z17shuffle_up_kernelILj32ELj128E12hip_bfloat16EvPT1_S2_
	.p2align	8
	.type	_Z17shuffle_up_kernelILj32ELj128E12hip_bfloat16EvPT1_S2_,@function
_Z17shuffle_up_kernelILj32ELj128E12hip_bfloat16EvPT1_S2_: ; @_Z17shuffle_up_kernelILj32ELj128E12hip_bfloat16EvPT1_S2_
; %bb.0:
	s_load_b128 s[0:3], s[0:1], 0x0
	v_dual_mov_b32 v2, 0 :: v_dual_lshlrev_b32 v1, 7, v0
	s_delay_alu instid0(VALU_DEP_1) | instskip(NEXT) | instid1(VALU_DEP_1)
	v_lshl_or_b32 v1, ttmp9, 12, v1
	v_lshlrev_b64_e32 v[1:2], 1, v[1:2]
	s_wait_kmcnt 0x0
	s_delay_alu instid0(VALU_DEP_1) | instskip(NEXT) | instid1(VALU_DEP_1)
	v_add_co_u32 v3, vcc_lo, s0, v1
	v_add_co_ci_u32_e64 v4, null, s1, v2, vcc_lo
	v_add_co_u32 v1, vcc_lo, s2, v1
	s_wait_alu 0xfffd
	v_add_co_ci_u32_e64 v2, null, s3, v2, vcc_lo
	global_load_b32 v5, v[3:4], off offset:252
	s_mov_b32 s0, exec_lo
	s_wait_loadcnt 0x0
	global_store_b16 v[1:2], v5, off offset:254
	global_load_u16 v6, v[3:4], off offset:250
	s_wait_loadcnt 0x0
	global_store_b16 v[1:2], v6, off offset:252
	global_load_u16 v6, v[3:4], off offset:248
	;; [unrolled: 3-line block ×125, first 2 shown]
	s_wait_loadcnt 0x0
	global_store_b16 v[1:2], v6, off offset:4
	global_load_u16 v4, v[3:4], off
	v_lshlrev_b32_e32 v3, 1, v0
	ds_store_b16_d16_hi v3, v5
	s_wait_loadcnt 0x0
	global_store_b16 v[1:2], v4, off offset:2
	; wave barrier
	s_wait_storecnt_dscnt 0x0
	global_inv scope:SCOPE_SE
	v_cmpx_ne_u32_e32 0, v0
	s_cbranch_execz .LBB34_2
; %bb.1:
	v_add_nc_u32_e32 v0, -2, v3
	ds_load_u16 v0, v0
	s_wait_dscnt 0x0
	global_store_b16 v[1:2], v0, off
.LBB34_2:
	s_endpgm
	.section	.rodata,"a",@progbits
	.p2align	6, 0x0
	.amdhsa_kernel _Z17shuffle_up_kernelILj32ELj128E12hip_bfloat16EvPT1_S2_
		.amdhsa_group_segment_fixed_size 64
		.amdhsa_private_segment_fixed_size 0
		.amdhsa_kernarg_size 16
		.amdhsa_user_sgpr_count 2
		.amdhsa_user_sgpr_dispatch_ptr 0
		.amdhsa_user_sgpr_queue_ptr 0
		.amdhsa_user_sgpr_kernarg_segment_ptr 1
		.amdhsa_user_sgpr_dispatch_id 0
		.amdhsa_user_sgpr_private_segment_size 0
		.amdhsa_wavefront_size32 1
		.amdhsa_uses_dynamic_stack 0
		.amdhsa_enable_private_segment 0
		.amdhsa_system_sgpr_workgroup_id_x 1
		.amdhsa_system_sgpr_workgroup_id_y 0
		.amdhsa_system_sgpr_workgroup_id_z 0
		.amdhsa_system_sgpr_workgroup_info 0
		.amdhsa_system_vgpr_workitem_id 0
		.amdhsa_next_free_vgpr 7
		.amdhsa_next_free_sgpr 4
		.amdhsa_reserve_vcc 1
		.amdhsa_float_round_mode_32 0
		.amdhsa_float_round_mode_16_64 0
		.amdhsa_float_denorm_mode_32 3
		.amdhsa_float_denorm_mode_16_64 3
		.amdhsa_fp16_overflow 0
		.amdhsa_workgroup_processor_mode 1
		.amdhsa_memory_ordered 1
		.amdhsa_forward_progress 1
		.amdhsa_inst_pref_size 29
		.amdhsa_round_robin_scheduling 0
		.amdhsa_exception_fp_ieee_invalid_op 0
		.amdhsa_exception_fp_denorm_src 0
		.amdhsa_exception_fp_ieee_div_zero 0
		.amdhsa_exception_fp_ieee_overflow 0
		.amdhsa_exception_fp_ieee_underflow 0
		.amdhsa_exception_fp_ieee_inexact 0
		.amdhsa_exception_int_div_zero 0
	.end_amdhsa_kernel
	.section	.text._Z17shuffle_up_kernelILj32ELj128E12hip_bfloat16EvPT1_S2_,"axG",@progbits,_Z17shuffle_up_kernelILj32ELj128E12hip_bfloat16EvPT1_S2_,comdat
.Lfunc_end34:
	.size	_Z17shuffle_up_kernelILj32ELj128E12hip_bfloat16EvPT1_S2_, .Lfunc_end34-_Z17shuffle_up_kernelILj32ELj128E12hip_bfloat16EvPT1_S2_
                                        ; -- End function
	.set _Z17shuffle_up_kernelILj32ELj128E12hip_bfloat16EvPT1_S2_.num_vgpr, 7
	.set _Z17shuffle_up_kernelILj32ELj128E12hip_bfloat16EvPT1_S2_.num_agpr, 0
	.set _Z17shuffle_up_kernelILj32ELj128E12hip_bfloat16EvPT1_S2_.numbered_sgpr, 4
	.set _Z17shuffle_up_kernelILj32ELj128E12hip_bfloat16EvPT1_S2_.num_named_barrier, 0
	.set _Z17shuffle_up_kernelILj32ELj128E12hip_bfloat16EvPT1_S2_.private_seg_size, 0
	.set _Z17shuffle_up_kernelILj32ELj128E12hip_bfloat16EvPT1_S2_.uses_vcc, 1
	.set _Z17shuffle_up_kernelILj32ELj128E12hip_bfloat16EvPT1_S2_.uses_flat_scratch, 0
	.set _Z17shuffle_up_kernelILj32ELj128E12hip_bfloat16EvPT1_S2_.has_dyn_sized_stack, 0
	.set _Z17shuffle_up_kernelILj32ELj128E12hip_bfloat16EvPT1_S2_.has_recursion, 0
	.set _Z17shuffle_up_kernelILj32ELj128E12hip_bfloat16EvPT1_S2_.has_indirect_call, 0
	.section	.AMDGPU.csdata,"",@progbits
; Kernel info:
; codeLenInByte = 3704
; TotalNumSgprs: 6
; NumVgprs: 7
; ScratchSize: 0
; MemoryBound: 1
; FloatMode: 240
; IeeeMode: 1
; LDSByteSize: 64 bytes/workgroup (compile time only)
; SGPRBlocks: 0
; VGPRBlocks: 0
; NumSGPRsForWavesPerEU: 6
; NumVGPRsForWavesPerEU: 7
; Occupancy: 16
; WaveLimiterHint : 1
; COMPUTE_PGM_RSRC2:SCRATCH_EN: 0
; COMPUTE_PGM_RSRC2:USER_SGPR: 2
; COMPUTE_PGM_RSRC2:TRAP_HANDLER: 0
; COMPUTE_PGM_RSRC2:TGID_X_EN: 1
; COMPUTE_PGM_RSRC2:TGID_Y_EN: 0
; COMPUTE_PGM_RSRC2:TGID_Z_EN: 0
; COMPUTE_PGM_RSRC2:TIDIG_COMP_CNT: 0
	.section	.text._Z17shuffle_up_kernelILj32ELj128E6__halfEvPT1_S2_,"axG",@progbits,_Z17shuffle_up_kernelILj32ELj128E6__halfEvPT1_S2_,comdat
	.protected	_Z17shuffle_up_kernelILj32ELj128E6__halfEvPT1_S2_ ; -- Begin function _Z17shuffle_up_kernelILj32ELj128E6__halfEvPT1_S2_
	.globl	_Z17shuffle_up_kernelILj32ELj128E6__halfEvPT1_S2_
	.p2align	8
	.type	_Z17shuffle_up_kernelILj32ELj128E6__halfEvPT1_S2_,@function
_Z17shuffle_up_kernelILj32ELj128E6__halfEvPT1_S2_: ; @_Z17shuffle_up_kernelILj32ELj128E6__halfEvPT1_S2_
; %bb.0:
	s_load_b128 s[0:3], s[0:1], 0x0
	v_dual_mov_b32 v2, 0 :: v_dual_lshlrev_b32 v1, 7, v0
	s_delay_alu instid0(VALU_DEP_1) | instskip(NEXT) | instid1(VALU_DEP_1)
	v_lshl_or_b32 v1, ttmp9, 12, v1
	v_lshlrev_b64_e32 v[1:2], 1, v[1:2]
	s_wait_kmcnt 0x0
	s_delay_alu instid0(VALU_DEP_1) | instskip(NEXT) | instid1(VALU_DEP_1)
	v_add_co_u32 v3, vcc_lo, s0, v1
	v_add_co_ci_u32_e64 v4, null, s1, v2, vcc_lo
	v_add_co_u32 v1, vcc_lo, s2, v1
	s_wait_alu 0xfffd
	v_add_co_ci_u32_e64 v2, null, s3, v2, vcc_lo
	global_load_b32 v5, v[3:4], off offset:252
	s_mov_b32 s0, exec_lo
	s_wait_loadcnt 0x0
	global_store_b16 v[1:2], v5, off offset:254
	global_load_u16 v6, v[3:4], off offset:250
	s_wait_loadcnt 0x0
	global_store_b16 v[1:2], v6, off offset:252
	global_load_u16 v6, v[3:4], off offset:248
	;; [unrolled: 3-line block ×125, first 2 shown]
	s_wait_loadcnt 0x0
	global_store_b16 v[1:2], v6, off offset:4
	global_load_u16 v4, v[3:4], off
	v_lshlrev_b32_e32 v3, 1, v0
	ds_store_b16_d16_hi v3, v5
	s_wait_loadcnt 0x0
	global_store_b16 v[1:2], v4, off offset:2
	; wave barrier
	s_wait_storecnt_dscnt 0x0
	global_inv scope:SCOPE_SE
	v_cmpx_ne_u32_e32 0, v0
	s_cbranch_execz .LBB35_2
; %bb.1:
	v_add_nc_u32_e32 v0, -2, v3
	ds_load_u16 v0, v0
	s_wait_dscnt 0x0
	global_store_b16 v[1:2], v0, off
.LBB35_2:
	s_endpgm
	.section	.rodata,"a",@progbits
	.p2align	6, 0x0
	.amdhsa_kernel _Z17shuffle_up_kernelILj32ELj128E6__halfEvPT1_S2_
		.amdhsa_group_segment_fixed_size 64
		.amdhsa_private_segment_fixed_size 0
		.amdhsa_kernarg_size 16
		.amdhsa_user_sgpr_count 2
		.amdhsa_user_sgpr_dispatch_ptr 0
		.amdhsa_user_sgpr_queue_ptr 0
		.amdhsa_user_sgpr_kernarg_segment_ptr 1
		.amdhsa_user_sgpr_dispatch_id 0
		.amdhsa_user_sgpr_private_segment_size 0
		.amdhsa_wavefront_size32 1
		.amdhsa_uses_dynamic_stack 0
		.amdhsa_enable_private_segment 0
		.amdhsa_system_sgpr_workgroup_id_x 1
		.amdhsa_system_sgpr_workgroup_id_y 0
		.amdhsa_system_sgpr_workgroup_id_z 0
		.amdhsa_system_sgpr_workgroup_info 0
		.amdhsa_system_vgpr_workitem_id 0
		.amdhsa_next_free_vgpr 7
		.amdhsa_next_free_sgpr 4
		.amdhsa_reserve_vcc 1
		.amdhsa_float_round_mode_32 0
		.amdhsa_float_round_mode_16_64 0
		.amdhsa_float_denorm_mode_32 3
		.amdhsa_float_denorm_mode_16_64 3
		.amdhsa_fp16_overflow 0
		.amdhsa_workgroup_processor_mode 1
		.amdhsa_memory_ordered 1
		.amdhsa_forward_progress 1
		.amdhsa_inst_pref_size 29
		.amdhsa_round_robin_scheduling 0
		.amdhsa_exception_fp_ieee_invalid_op 0
		.amdhsa_exception_fp_denorm_src 0
		.amdhsa_exception_fp_ieee_div_zero 0
		.amdhsa_exception_fp_ieee_overflow 0
		.amdhsa_exception_fp_ieee_underflow 0
		.amdhsa_exception_fp_ieee_inexact 0
		.amdhsa_exception_int_div_zero 0
	.end_amdhsa_kernel
	.section	.text._Z17shuffle_up_kernelILj32ELj128E6__halfEvPT1_S2_,"axG",@progbits,_Z17shuffle_up_kernelILj32ELj128E6__halfEvPT1_S2_,comdat
.Lfunc_end35:
	.size	_Z17shuffle_up_kernelILj32ELj128E6__halfEvPT1_S2_, .Lfunc_end35-_Z17shuffle_up_kernelILj32ELj128E6__halfEvPT1_S2_
                                        ; -- End function
	.set _Z17shuffle_up_kernelILj32ELj128E6__halfEvPT1_S2_.num_vgpr, 7
	.set _Z17shuffle_up_kernelILj32ELj128E6__halfEvPT1_S2_.num_agpr, 0
	.set _Z17shuffle_up_kernelILj32ELj128E6__halfEvPT1_S2_.numbered_sgpr, 4
	.set _Z17shuffle_up_kernelILj32ELj128E6__halfEvPT1_S2_.num_named_barrier, 0
	.set _Z17shuffle_up_kernelILj32ELj128E6__halfEvPT1_S2_.private_seg_size, 0
	.set _Z17shuffle_up_kernelILj32ELj128E6__halfEvPT1_S2_.uses_vcc, 1
	.set _Z17shuffle_up_kernelILj32ELj128E6__halfEvPT1_S2_.uses_flat_scratch, 0
	.set _Z17shuffle_up_kernelILj32ELj128E6__halfEvPT1_S2_.has_dyn_sized_stack, 0
	.set _Z17shuffle_up_kernelILj32ELj128E6__halfEvPT1_S2_.has_recursion, 0
	.set _Z17shuffle_up_kernelILj32ELj128E6__halfEvPT1_S2_.has_indirect_call, 0
	.section	.AMDGPU.csdata,"",@progbits
; Kernel info:
; codeLenInByte = 3704
; TotalNumSgprs: 6
; NumVgprs: 7
; ScratchSize: 0
; MemoryBound: 1
; FloatMode: 240
; IeeeMode: 1
; LDSByteSize: 64 bytes/workgroup (compile time only)
; SGPRBlocks: 0
; VGPRBlocks: 0
; NumSGPRsForWavesPerEU: 6
; NumVGPRsForWavesPerEU: 7
; Occupancy: 16
; WaveLimiterHint : 1
; COMPUTE_PGM_RSRC2:SCRATCH_EN: 0
; COMPUTE_PGM_RSRC2:USER_SGPR: 2
; COMPUTE_PGM_RSRC2:TRAP_HANDLER: 0
; COMPUTE_PGM_RSRC2:TGID_X_EN: 1
; COMPUTE_PGM_RSRC2:TGID_Y_EN: 0
; COMPUTE_PGM_RSRC2:TGID_Z_EN: 0
; COMPUTE_PGM_RSRC2:TIDIG_COMP_CNT: 0
	.section	.text._Z17shuffle_up_kernelILj32ELj128EfEvPT1_S1_,"axG",@progbits,_Z17shuffle_up_kernelILj32ELj128EfEvPT1_S1_,comdat
	.protected	_Z17shuffle_up_kernelILj32ELj128EfEvPT1_S1_ ; -- Begin function _Z17shuffle_up_kernelILj32ELj128EfEvPT1_S1_
	.globl	_Z17shuffle_up_kernelILj32ELj128EfEvPT1_S1_
	.p2align	8
	.type	_Z17shuffle_up_kernelILj32ELj128EfEvPT1_S1_,@function
_Z17shuffle_up_kernelILj32ELj128EfEvPT1_S1_: ; @_Z17shuffle_up_kernelILj32ELj128EfEvPT1_S1_
; %bb.0:
	s_load_b128 s[0:3], s[0:1], 0x0
	v_dual_mov_b32 v2, 0 :: v_dual_lshlrev_b32 v1, 7, v0
	s_delay_alu instid0(VALU_DEP_1) | instskip(NEXT) | instid1(VALU_DEP_1)
	v_lshl_or_b32 v1, ttmp9, 12, v1
	v_lshlrev_b64_e32 v[1:2], 2, v[1:2]
	s_wait_kmcnt 0x0
	s_delay_alu instid0(VALU_DEP_1) | instskip(NEXT) | instid1(VALU_DEP_1)
	v_add_co_u32 v3, vcc_lo, s0, v1
	v_add_co_ci_u32_e64 v4, null, s1, v2, vcc_lo
	v_add_co_u32 v1, vcc_lo, s2, v1
	s_wait_alu 0xfffd
	v_add_co_ci_u32_e64 v2, null, s3, v2, vcc_lo
	global_load_b64 v[5:6], v[3:4], off offset:504
	s_mov_b32 s0, exec_lo
	s_wait_loadcnt 0x0
	global_store_b32 v[1:2], v5, off offset:508
	global_load_b32 v5, v[3:4], off offset:500
	s_wait_loadcnt 0x0
	global_store_b32 v[1:2], v5, off offset:504
	global_load_b32 v5, v[3:4], off offset:496
	;; [unrolled: 3-line block ×125, first 2 shown]
	s_wait_loadcnt 0x0
	global_store_b32 v[1:2], v5, off offset:8
	global_load_b32 v4, v[3:4], off
	v_lshlrev_b32_e32 v3, 2, v0
	ds_store_b32 v3, v6
	s_wait_loadcnt 0x0
	global_store_b32 v[1:2], v4, off offset:4
	; wave barrier
	s_wait_storecnt_dscnt 0x0
	global_inv scope:SCOPE_SE
	v_cmpx_ne_u32_e32 0, v0
	s_cbranch_execz .LBB36_2
; %bb.1:
	v_add_nc_u32_e32 v0, -4, v3
	ds_load_b32 v0, v0
	s_wait_dscnt 0x0
	global_store_b32 v[1:2], v0, off
.LBB36_2:
	s_endpgm
	.section	.rodata,"a",@progbits
	.p2align	6, 0x0
	.amdhsa_kernel _Z17shuffle_up_kernelILj32ELj128EfEvPT1_S1_
		.amdhsa_group_segment_fixed_size 128
		.amdhsa_private_segment_fixed_size 0
		.amdhsa_kernarg_size 16
		.amdhsa_user_sgpr_count 2
		.amdhsa_user_sgpr_dispatch_ptr 0
		.amdhsa_user_sgpr_queue_ptr 0
		.amdhsa_user_sgpr_kernarg_segment_ptr 1
		.amdhsa_user_sgpr_dispatch_id 0
		.amdhsa_user_sgpr_private_segment_size 0
		.amdhsa_wavefront_size32 1
		.amdhsa_uses_dynamic_stack 0
		.amdhsa_enable_private_segment 0
		.amdhsa_system_sgpr_workgroup_id_x 1
		.amdhsa_system_sgpr_workgroup_id_y 0
		.amdhsa_system_sgpr_workgroup_id_z 0
		.amdhsa_system_sgpr_workgroup_info 0
		.amdhsa_system_vgpr_workitem_id 0
		.amdhsa_next_free_vgpr 7
		.amdhsa_next_free_sgpr 4
		.amdhsa_reserve_vcc 1
		.amdhsa_float_round_mode_32 0
		.amdhsa_float_round_mode_16_64 0
		.amdhsa_float_denorm_mode_32 3
		.amdhsa_float_denorm_mode_16_64 3
		.amdhsa_fp16_overflow 0
		.amdhsa_workgroup_processor_mode 1
		.amdhsa_memory_ordered 1
		.amdhsa_forward_progress 1
		.amdhsa_inst_pref_size 29
		.amdhsa_round_robin_scheduling 0
		.amdhsa_exception_fp_ieee_invalid_op 0
		.amdhsa_exception_fp_denorm_src 0
		.amdhsa_exception_fp_ieee_div_zero 0
		.amdhsa_exception_fp_ieee_overflow 0
		.amdhsa_exception_fp_ieee_underflow 0
		.amdhsa_exception_fp_ieee_inexact 0
		.amdhsa_exception_int_div_zero 0
	.end_amdhsa_kernel
	.section	.text._Z17shuffle_up_kernelILj32ELj128EfEvPT1_S1_,"axG",@progbits,_Z17shuffle_up_kernelILj32ELj128EfEvPT1_S1_,comdat
.Lfunc_end36:
	.size	_Z17shuffle_up_kernelILj32ELj128EfEvPT1_S1_, .Lfunc_end36-_Z17shuffle_up_kernelILj32ELj128EfEvPT1_S1_
                                        ; -- End function
	.set _Z17shuffle_up_kernelILj32ELj128EfEvPT1_S1_.num_vgpr, 7
	.set _Z17shuffle_up_kernelILj32ELj128EfEvPT1_S1_.num_agpr, 0
	.set _Z17shuffle_up_kernelILj32ELj128EfEvPT1_S1_.numbered_sgpr, 4
	.set _Z17shuffle_up_kernelILj32ELj128EfEvPT1_S1_.num_named_barrier, 0
	.set _Z17shuffle_up_kernelILj32ELj128EfEvPT1_S1_.private_seg_size, 0
	.set _Z17shuffle_up_kernelILj32ELj128EfEvPT1_S1_.uses_vcc, 1
	.set _Z17shuffle_up_kernelILj32ELj128EfEvPT1_S1_.uses_flat_scratch, 0
	.set _Z17shuffle_up_kernelILj32ELj128EfEvPT1_S1_.has_dyn_sized_stack, 0
	.set _Z17shuffle_up_kernelILj32ELj128EfEvPT1_S1_.has_recursion, 0
	.set _Z17shuffle_up_kernelILj32ELj128EfEvPT1_S1_.has_indirect_call, 0
	.section	.AMDGPU.csdata,"",@progbits
; Kernel info:
; codeLenInByte = 3704
; TotalNumSgprs: 6
; NumVgprs: 7
; ScratchSize: 0
; MemoryBound: 1
; FloatMode: 240
; IeeeMode: 1
; LDSByteSize: 128 bytes/workgroup (compile time only)
; SGPRBlocks: 0
; VGPRBlocks: 0
; NumSGPRsForWavesPerEU: 6
; NumVGPRsForWavesPerEU: 7
; Occupancy: 16
; WaveLimiterHint : 1
; COMPUTE_PGM_RSRC2:SCRATCH_EN: 0
; COMPUTE_PGM_RSRC2:USER_SGPR: 2
; COMPUTE_PGM_RSRC2:TRAP_HANDLER: 0
; COMPUTE_PGM_RSRC2:TGID_X_EN: 1
; COMPUTE_PGM_RSRC2:TGID_Y_EN: 0
; COMPUTE_PGM_RSRC2:TGID_Z_EN: 0
; COMPUTE_PGM_RSRC2:TIDIG_COMP_CNT: 0
	.section	.text._Z17shuffle_up_kernelILj377ELj128ElEvPT1_S1_,"axG",@progbits,_Z17shuffle_up_kernelILj377ELj128ElEvPT1_S1_,comdat
	.protected	_Z17shuffle_up_kernelILj377ELj128ElEvPT1_S1_ ; -- Begin function _Z17shuffle_up_kernelILj377ELj128ElEvPT1_S1_
	.globl	_Z17shuffle_up_kernelILj377ELj128ElEvPT1_S1_
	.p2align	8
	.type	_Z17shuffle_up_kernelILj377ELj128ElEvPT1_S1_,@function
_Z17shuffle_up_kernelILj377ELj128ElEvPT1_S1_: ; @_Z17shuffle_up_kernelILj377ELj128ElEvPT1_S1_
; %bb.0:
	s_load_b128 s[0:3], s[0:1], 0x0
	s_mul_i32 s4, ttmp9, 0x179
	v_mov_b32_e32 v2, 0
	v_add_lshl_u32 v1, s4, v0, 7
	s_delay_alu instid0(VALU_DEP_1) | instskip(SKIP_1) | instid1(VALU_DEP_1)
	v_lshlrev_b64_e32 v[1:2], 3, v[1:2]
	s_wait_kmcnt 0x0
	v_add_co_u32 v7, vcc_lo, s0, v1
	s_delay_alu instid0(VALU_DEP_1)
	v_add_co_ci_u32_e64 v8, null, s1, v2, vcc_lo
	v_add_co_u32 v1, vcc_lo, s2, v1
	s_wait_alu 0xfffd
	v_add_co_ci_u32_e64 v2, null, s3, v2, vcc_lo
	global_load_b128 v[3:6], v[7:8], off offset:1008
	s_mov_b32 s0, exec_lo
	s_wait_loadcnt 0x0
	global_store_b64 v[1:2], v[3:4], off offset:1016
	global_load_b64 v[3:4], v[7:8], off offset:1000
	s_wait_loadcnt 0x0
	global_store_b64 v[1:2], v[3:4], off offset:1008
	global_load_b64 v[3:4], v[7:8], off offset:992
	;; [unrolled: 3-line block ×125, first 2 shown]
	s_wait_loadcnt 0x0
	global_store_b64 v[1:2], v[3:4], off offset:16
	global_load_b64 v[7:8], v[7:8], off
	v_lshlrev_b32_e32 v3, 3, v0
	ds_store_b64 v3, v[5:6]
	s_wait_loadcnt 0x0
	global_store_b64 v[1:2], v[7:8], off offset:8
	s_wait_storecnt_dscnt 0x0
	s_barrier_signal -1
	s_barrier_wait -1
	global_inv scope:SCOPE_SE
	v_cmpx_ne_u32_e32 0, v0
	s_cbranch_execz .LBB37_2
; %bb.1:
	v_add_nc_u32_e32 v0, -8, v3
	ds_load_b64 v[3:4], v0
	s_wait_dscnt 0x0
	global_store_b64 v[1:2], v[3:4], off
.LBB37_2:
	s_endpgm
	.section	.rodata,"a",@progbits
	.p2align	6, 0x0
	.amdhsa_kernel _Z17shuffle_up_kernelILj377ELj128ElEvPT1_S1_
		.amdhsa_group_segment_fixed_size 3016
		.amdhsa_private_segment_fixed_size 0
		.amdhsa_kernarg_size 16
		.amdhsa_user_sgpr_count 2
		.amdhsa_user_sgpr_dispatch_ptr 0
		.amdhsa_user_sgpr_queue_ptr 0
		.amdhsa_user_sgpr_kernarg_segment_ptr 1
		.amdhsa_user_sgpr_dispatch_id 0
		.amdhsa_user_sgpr_private_segment_size 0
		.amdhsa_wavefront_size32 1
		.amdhsa_uses_dynamic_stack 0
		.amdhsa_enable_private_segment 0
		.amdhsa_system_sgpr_workgroup_id_x 1
		.amdhsa_system_sgpr_workgroup_id_y 0
		.amdhsa_system_sgpr_workgroup_id_z 0
		.amdhsa_system_sgpr_workgroup_info 0
		.amdhsa_system_vgpr_workitem_id 0
		.amdhsa_next_free_vgpr 9
		.amdhsa_next_free_sgpr 5
		.amdhsa_reserve_vcc 1
		.amdhsa_float_round_mode_32 0
		.amdhsa_float_round_mode_16_64 0
		.amdhsa_float_denorm_mode_32 3
		.amdhsa_float_denorm_mode_16_64 3
		.amdhsa_fp16_overflow 0
		.amdhsa_workgroup_processor_mode 1
		.amdhsa_memory_ordered 1
		.amdhsa_forward_progress 1
		.amdhsa_inst_pref_size 30
		.amdhsa_round_robin_scheduling 0
		.amdhsa_exception_fp_ieee_invalid_op 0
		.amdhsa_exception_fp_denorm_src 0
		.amdhsa_exception_fp_ieee_div_zero 0
		.amdhsa_exception_fp_ieee_overflow 0
		.amdhsa_exception_fp_ieee_underflow 0
		.amdhsa_exception_fp_ieee_inexact 0
		.amdhsa_exception_int_div_zero 0
	.end_amdhsa_kernel
	.section	.text._Z17shuffle_up_kernelILj377ELj128ElEvPT1_S1_,"axG",@progbits,_Z17shuffle_up_kernelILj377ELj128ElEvPT1_S1_,comdat
.Lfunc_end37:
	.size	_Z17shuffle_up_kernelILj377ELj128ElEvPT1_S1_, .Lfunc_end37-_Z17shuffle_up_kernelILj377ELj128ElEvPT1_S1_
                                        ; -- End function
	.set _Z17shuffle_up_kernelILj377ELj128ElEvPT1_S1_.num_vgpr, 9
	.set _Z17shuffle_up_kernelILj377ELj128ElEvPT1_S1_.num_agpr, 0
	.set _Z17shuffle_up_kernelILj377ELj128ElEvPT1_S1_.numbered_sgpr, 5
	.set _Z17shuffle_up_kernelILj377ELj128ElEvPT1_S1_.num_named_barrier, 0
	.set _Z17shuffle_up_kernelILj377ELj128ElEvPT1_S1_.private_seg_size, 0
	.set _Z17shuffle_up_kernelILj377ELj128ElEvPT1_S1_.uses_vcc, 1
	.set _Z17shuffle_up_kernelILj377ELj128ElEvPT1_S1_.uses_flat_scratch, 0
	.set _Z17shuffle_up_kernelILj377ELj128ElEvPT1_S1_.has_dyn_sized_stack, 0
	.set _Z17shuffle_up_kernelILj377ELj128ElEvPT1_S1_.has_recursion, 0
	.set _Z17shuffle_up_kernelILj377ELj128ElEvPT1_S1_.has_indirect_call, 0
	.section	.AMDGPU.csdata,"",@progbits
; Kernel info:
; codeLenInByte = 3716
; TotalNumSgprs: 7
; NumVgprs: 9
; ScratchSize: 0
; MemoryBound: 1
; FloatMode: 240
; IeeeMode: 1
; LDSByteSize: 3016 bytes/workgroup (compile time only)
; SGPRBlocks: 0
; VGPRBlocks: 1
; NumSGPRsForWavesPerEU: 7
; NumVGPRsForWavesPerEU: 9
; Occupancy: 15
; WaveLimiterHint : 1
; COMPUTE_PGM_RSRC2:SCRATCH_EN: 0
; COMPUTE_PGM_RSRC2:USER_SGPR: 2
; COMPUTE_PGM_RSRC2:TRAP_HANDLER: 0
; COMPUTE_PGM_RSRC2:TGID_X_EN: 1
; COMPUTE_PGM_RSRC2:TGID_Y_EN: 0
; COMPUTE_PGM_RSRC2:TGID_Z_EN: 0
; COMPUTE_PGM_RSRC2:TIDIG_COMP_CNT: 0
	.section	.text._Z17shuffle_up_kernelILj256ELj128ElEvPT1_S1_,"axG",@progbits,_Z17shuffle_up_kernelILj256ELj128ElEvPT1_S1_,comdat
	.protected	_Z17shuffle_up_kernelILj256ELj128ElEvPT1_S1_ ; -- Begin function _Z17shuffle_up_kernelILj256ELj128ElEvPT1_S1_
	.globl	_Z17shuffle_up_kernelILj256ELj128ElEvPT1_S1_
	.p2align	8
	.type	_Z17shuffle_up_kernelILj256ELj128ElEvPT1_S1_,@function
_Z17shuffle_up_kernelILj256ELj128ElEvPT1_S1_: ; @_Z17shuffle_up_kernelILj256ELj128ElEvPT1_S1_
; %bb.0:
	s_load_b128 s[0:3], s[0:1], 0x0
	v_dual_mov_b32 v2, 0 :: v_dual_lshlrev_b32 v1, 7, v0
	s_delay_alu instid0(VALU_DEP_1) | instskip(NEXT) | instid1(VALU_DEP_1)
	v_lshl_or_b32 v1, ttmp9, 15, v1
	v_lshlrev_b64_e32 v[1:2], 3, v[1:2]
	s_wait_kmcnt 0x0
	s_delay_alu instid0(VALU_DEP_1) | instskip(NEXT) | instid1(VALU_DEP_1)
	v_add_co_u32 v7, vcc_lo, s0, v1
	v_add_co_ci_u32_e64 v8, null, s1, v2, vcc_lo
	v_add_co_u32 v1, vcc_lo, s2, v1
	s_wait_alu 0xfffd
	v_add_co_ci_u32_e64 v2, null, s3, v2, vcc_lo
	global_load_b128 v[3:6], v[7:8], off offset:1008
	s_mov_b32 s0, exec_lo
	s_wait_loadcnt 0x0
	global_store_b64 v[1:2], v[3:4], off offset:1016
	global_load_b64 v[3:4], v[7:8], off offset:1000
	s_wait_loadcnt 0x0
	global_store_b64 v[1:2], v[3:4], off offset:1008
	global_load_b64 v[3:4], v[7:8], off offset:992
	;; [unrolled: 3-line block ×125, first 2 shown]
	s_wait_loadcnt 0x0
	global_store_b64 v[1:2], v[3:4], off offset:16
	global_load_b64 v[7:8], v[7:8], off
	v_lshlrev_b32_e32 v3, 3, v0
	ds_store_b64 v3, v[5:6]
	s_wait_loadcnt 0x0
	global_store_b64 v[1:2], v[7:8], off offset:8
	s_wait_storecnt_dscnt 0x0
	s_barrier_signal -1
	s_barrier_wait -1
	global_inv scope:SCOPE_SE
	v_cmpx_ne_u32_e32 0, v0
	s_cbranch_execz .LBB38_2
; %bb.1:
	v_add_nc_u32_e32 v0, -8, v3
	ds_load_b64 v[3:4], v0
	s_wait_dscnt 0x0
	global_store_b64 v[1:2], v[3:4], off
.LBB38_2:
	s_endpgm
	.section	.rodata,"a",@progbits
	.p2align	6, 0x0
	.amdhsa_kernel _Z17shuffle_up_kernelILj256ELj128ElEvPT1_S1_
		.amdhsa_group_segment_fixed_size 2048
		.amdhsa_private_segment_fixed_size 0
		.amdhsa_kernarg_size 16
		.amdhsa_user_sgpr_count 2
		.amdhsa_user_sgpr_dispatch_ptr 0
		.amdhsa_user_sgpr_queue_ptr 0
		.amdhsa_user_sgpr_kernarg_segment_ptr 1
		.amdhsa_user_sgpr_dispatch_id 0
		.amdhsa_user_sgpr_private_segment_size 0
		.amdhsa_wavefront_size32 1
		.amdhsa_uses_dynamic_stack 0
		.amdhsa_enable_private_segment 0
		.amdhsa_system_sgpr_workgroup_id_x 1
		.amdhsa_system_sgpr_workgroup_id_y 0
		.amdhsa_system_sgpr_workgroup_id_z 0
		.amdhsa_system_sgpr_workgroup_info 0
		.amdhsa_system_vgpr_workitem_id 0
		.amdhsa_next_free_vgpr 9
		.amdhsa_next_free_sgpr 4
		.amdhsa_reserve_vcc 1
		.amdhsa_float_round_mode_32 0
		.amdhsa_float_round_mode_16_64 0
		.amdhsa_float_denorm_mode_32 3
		.amdhsa_float_denorm_mode_16_64 3
		.amdhsa_fp16_overflow 0
		.amdhsa_workgroup_processor_mode 1
		.amdhsa_memory_ordered 1
		.amdhsa_forward_progress 1
		.amdhsa_inst_pref_size 29
		.amdhsa_round_robin_scheduling 0
		.amdhsa_exception_fp_ieee_invalid_op 0
		.amdhsa_exception_fp_denorm_src 0
		.amdhsa_exception_fp_ieee_div_zero 0
		.amdhsa_exception_fp_ieee_overflow 0
		.amdhsa_exception_fp_ieee_underflow 0
		.amdhsa_exception_fp_ieee_inexact 0
		.amdhsa_exception_int_div_zero 0
	.end_amdhsa_kernel
	.section	.text._Z17shuffle_up_kernelILj256ELj128ElEvPT1_S1_,"axG",@progbits,_Z17shuffle_up_kernelILj256ELj128ElEvPT1_S1_,comdat
.Lfunc_end38:
	.size	_Z17shuffle_up_kernelILj256ELj128ElEvPT1_S1_, .Lfunc_end38-_Z17shuffle_up_kernelILj256ELj128ElEvPT1_S1_
                                        ; -- End function
	.set _Z17shuffle_up_kernelILj256ELj128ElEvPT1_S1_.num_vgpr, 9
	.set _Z17shuffle_up_kernelILj256ELj128ElEvPT1_S1_.num_agpr, 0
	.set _Z17shuffle_up_kernelILj256ELj128ElEvPT1_S1_.numbered_sgpr, 4
	.set _Z17shuffle_up_kernelILj256ELj128ElEvPT1_S1_.num_named_barrier, 0
	.set _Z17shuffle_up_kernelILj256ELj128ElEvPT1_S1_.private_seg_size, 0
	.set _Z17shuffle_up_kernelILj256ELj128ElEvPT1_S1_.uses_vcc, 1
	.set _Z17shuffle_up_kernelILj256ELj128ElEvPT1_S1_.uses_flat_scratch, 0
	.set _Z17shuffle_up_kernelILj256ELj128ElEvPT1_S1_.has_dyn_sized_stack, 0
	.set _Z17shuffle_up_kernelILj256ELj128ElEvPT1_S1_.has_recursion, 0
	.set _Z17shuffle_up_kernelILj256ELj128ElEvPT1_S1_.has_indirect_call, 0
	.section	.AMDGPU.csdata,"",@progbits
; Kernel info:
; codeLenInByte = 3712
; TotalNumSgprs: 6
; NumVgprs: 9
; ScratchSize: 0
; MemoryBound: 1
; FloatMode: 240
; IeeeMode: 1
; LDSByteSize: 2048 bytes/workgroup (compile time only)
; SGPRBlocks: 0
; VGPRBlocks: 1
; NumSGPRsForWavesPerEU: 6
; NumVGPRsForWavesPerEU: 9
; Occupancy: 16
; WaveLimiterHint : 1
; COMPUTE_PGM_RSRC2:SCRATCH_EN: 0
; COMPUTE_PGM_RSRC2:USER_SGPR: 2
; COMPUTE_PGM_RSRC2:TRAP_HANDLER: 0
; COMPUTE_PGM_RSRC2:TGID_X_EN: 1
; COMPUTE_PGM_RSRC2:TGID_Y_EN: 0
; COMPUTE_PGM_RSRC2:TGID_Z_EN: 0
; COMPUTE_PGM_RSRC2:TIDIG_COMP_CNT: 0
	.section	.text._Z17shuffle_up_kernelILj64ELj128ElEvPT1_S1_,"axG",@progbits,_Z17shuffle_up_kernelILj64ELj128ElEvPT1_S1_,comdat
	.protected	_Z17shuffle_up_kernelILj64ELj128ElEvPT1_S1_ ; -- Begin function _Z17shuffle_up_kernelILj64ELj128ElEvPT1_S1_
	.globl	_Z17shuffle_up_kernelILj64ELj128ElEvPT1_S1_
	.p2align	8
	.type	_Z17shuffle_up_kernelILj64ELj128ElEvPT1_S1_,@function
_Z17shuffle_up_kernelILj64ELj128ElEvPT1_S1_: ; @_Z17shuffle_up_kernelILj64ELj128ElEvPT1_S1_
; %bb.0:
	s_load_b128 s[0:3], s[0:1], 0x0
	v_dual_mov_b32 v2, 0 :: v_dual_lshlrev_b32 v1, 7, v0
	s_delay_alu instid0(VALU_DEP_1) | instskip(NEXT) | instid1(VALU_DEP_1)
	v_lshl_or_b32 v1, ttmp9, 13, v1
	v_lshlrev_b64_e32 v[1:2], 3, v[1:2]
	s_wait_kmcnt 0x0
	s_delay_alu instid0(VALU_DEP_1) | instskip(NEXT) | instid1(VALU_DEP_1)
	v_add_co_u32 v7, vcc_lo, s0, v1
	v_add_co_ci_u32_e64 v8, null, s1, v2, vcc_lo
	v_add_co_u32 v1, vcc_lo, s2, v1
	s_wait_alu 0xfffd
	v_add_co_ci_u32_e64 v2, null, s3, v2, vcc_lo
	global_load_b128 v[3:6], v[7:8], off offset:1008
	s_mov_b32 s0, exec_lo
	s_wait_loadcnt 0x0
	global_store_b64 v[1:2], v[3:4], off offset:1016
	global_load_b64 v[3:4], v[7:8], off offset:1000
	s_wait_loadcnt 0x0
	global_store_b64 v[1:2], v[3:4], off offset:1008
	global_load_b64 v[3:4], v[7:8], off offset:992
	;; [unrolled: 3-line block ×125, first 2 shown]
	s_wait_loadcnt 0x0
	global_store_b64 v[1:2], v[3:4], off offset:16
	global_load_b64 v[7:8], v[7:8], off
	v_lshlrev_b32_e32 v3, 3, v0
	ds_store_b64 v3, v[5:6]
	s_wait_loadcnt 0x0
	global_store_b64 v[1:2], v[7:8], off offset:8
	s_wait_storecnt_dscnt 0x0
	s_barrier_signal -1
	s_barrier_wait -1
	global_inv scope:SCOPE_SE
	v_cmpx_ne_u32_e32 0, v0
	s_cbranch_execz .LBB39_2
; %bb.1:
	v_add_nc_u32_e32 v0, -8, v3
	ds_load_b64 v[3:4], v0
	s_wait_dscnt 0x0
	global_store_b64 v[1:2], v[3:4], off
.LBB39_2:
	s_endpgm
	.section	.rodata,"a",@progbits
	.p2align	6, 0x0
	.amdhsa_kernel _Z17shuffle_up_kernelILj64ELj128ElEvPT1_S1_
		.amdhsa_group_segment_fixed_size 512
		.amdhsa_private_segment_fixed_size 0
		.amdhsa_kernarg_size 16
		.amdhsa_user_sgpr_count 2
		.amdhsa_user_sgpr_dispatch_ptr 0
		.amdhsa_user_sgpr_queue_ptr 0
		.amdhsa_user_sgpr_kernarg_segment_ptr 1
		.amdhsa_user_sgpr_dispatch_id 0
		.amdhsa_user_sgpr_private_segment_size 0
		.amdhsa_wavefront_size32 1
		.amdhsa_uses_dynamic_stack 0
		.amdhsa_enable_private_segment 0
		.amdhsa_system_sgpr_workgroup_id_x 1
		.amdhsa_system_sgpr_workgroup_id_y 0
		.amdhsa_system_sgpr_workgroup_id_z 0
		.amdhsa_system_sgpr_workgroup_info 0
		.amdhsa_system_vgpr_workitem_id 0
		.amdhsa_next_free_vgpr 9
		.amdhsa_next_free_sgpr 4
		.amdhsa_reserve_vcc 1
		.amdhsa_float_round_mode_32 0
		.amdhsa_float_round_mode_16_64 0
		.amdhsa_float_denorm_mode_32 3
		.amdhsa_float_denorm_mode_16_64 3
		.amdhsa_fp16_overflow 0
		.amdhsa_workgroup_processor_mode 1
		.amdhsa_memory_ordered 1
		.amdhsa_forward_progress 1
		.amdhsa_inst_pref_size 29
		.amdhsa_round_robin_scheduling 0
		.amdhsa_exception_fp_ieee_invalid_op 0
		.amdhsa_exception_fp_denorm_src 0
		.amdhsa_exception_fp_ieee_div_zero 0
		.amdhsa_exception_fp_ieee_overflow 0
		.amdhsa_exception_fp_ieee_underflow 0
		.amdhsa_exception_fp_ieee_inexact 0
		.amdhsa_exception_int_div_zero 0
	.end_amdhsa_kernel
	.section	.text._Z17shuffle_up_kernelILj64ELj128ElEvPT1_S1_,"axG",@progbits,_Z17shuffle_up_kernelILj64ELj128ElEvPT1_S1_,comdat
.Lfunc_end39:
	.size	_Z17shuffle_up_kernelILj64ELj128ElEvPT1_S1_, .Lfunc_end39-_Z17shuffle_up_kernelILj64ELj128ElEvPT1_S1_
                                        ; -- End function
	.set _Z17shuffle_up_kernelILj64ELj128ElEvPT1_S1_.num_vgpr, 9
	.set _Z17shuffle_up_kernelILj64ELj128ElEvPT1_S1_.num_agpr, 0
	.set _Z17shuffle_up_kernelILj64ELj128ElEvPT1_S1_.numbered_sgpr, 4
	.set _Z17shuffle_up_kernelILj64ELj128ElEvPT1_S1_.num_named_barrier, 0
	.set _Z17shuffle_up_kernelILj64ELj128ElEvPT1_S1_.private_seg_size, 0
	.set _Z17shuffle_up_kernelILj64ELj128ElEvPT1_S1_.uses_vcc, 1
	.set _Z17shuffle_up_kernelILj64ELj128ElEvPT1_S1_.uses_flat_scratch, 0
	.set _Z17shuffle_up_kernelILj64ELj128ElEvPT1_S1_.has_dyn_sized_stack, 0
	.set _Z17shuffle_up_kernelILj64ELj128ElEvPT1_S1_.has_recursion, 0
	.set _Z17shuffle_up_kernelILj64ELj128ElEvPT1_S1_.has_indirect_call, 0
	.section	.AMDGPU.csdata,"",@progbits
; Kernel info:
; codeLenInByte = 3712
; TotalNumSgprs: 6
; NumVgprs: 9
; ScratchSize: 0
; MemoryBound: 1
; FloatMode: 240
; IeeeMode: 1
; LDSByteSize: 512 bytes/workgroup (compile time only)
; SGPRBlocks: 0
; VGPRBlocks: 1
; NumSGPRsForWavesPerEU: 6
; NumVGPRsForWavesPerEU: 9
; Occupancy: 16
; WaveLimiterHint : 1
; COMPUTE_PGM_RSRC2:SCRATCH_EN: 0
; COMPUTE_PGM_RSRC2:USER_SGPR: 2
; COMPUTE_PGM_RSRC2:TRAP_HANDLER: 0
; COMPUTE_PGM_RSRC2:TGID_X_EN: 1
; COMPUTE_PGM_RSRC2:TGID_Y_EN: 0
; COMPUTE_PGM_RSRC2:TGID_Z_EN: 0
; COMPUTE_PGM_RSRC2:TIDIG_COMP_CNT: 0
	.section	.text._Z17shuffle_up_kernelILj377ELj128EjEvPT1_S1_,"axG",@progbits,_Z17shuffle_up_kernelILj377ELj128EjEvPT1_S1_,comdat
	.protected	_Z17shuffle_up_kernelILj377ELj128EjEvPT1_S1_ ; -- Begin function _Z17shuffle_up_kernelILj377ELj128EjEvPT1_S1_
	.globl	_Z17shuffle_up_kernelILj377ELj128EjEvPT1_S1_
	.p2align	8
	.type	_Z17shuffle_up_kernelILj377ELj128EjEvPT1_S1_,@function
_Z17shuffle_up_kernelILj377ELj128EjEvPT1_S1_: ; @_Z17shuffle_up_kernelILj377ELj128EjEvPT1_S1_
; %bb.0:
	s_load_b128 s[0:3], s[0:1], 0x0
	s_mul_i32 s4, ttmp9, 0x179
	v_mov_b32_e32 v2, 0
	v_add_lshl_u32 v1, s4, v0, 7
	s_delay_alu instid0(VALU_DEP_1) | instskip(SKIP_1) | instid1(VALU_DEP_1)
	v_lshlrev_b64_e32 v[1:2], 2, v[1:2]
	s_wait_kmcnt 0x0
	v_add_co_u32 v3, vcc_lo, s0, v1
	s_delay_alu instid0(VALU_DEP_1)
	v_add_co_ci_u32_e64 v4, null, s1, v2, vcc_lo
	v_add_co_u32 v1, vcc_lo, s2, v1
	s_wait_alu 0xfffd
	v_add_co_ci_u32_e64 v2, null, s3, v2, vcc_lo
	global_load_b64 v[5:6], v[3:4], off offset:504
	s_mov_b32 s0, exec_lo
	s_wait_loadcnt 0x0
	global_store_b32 v[1:2], v5, off offset:508
	global_load_b32 v5, v[3:4], off offset:500
	s_wait_loadcnt 0x0
	global_store_b32 v[1:2], v5, off offset:504
	global_load_b32 v5, v[3:4], off offset:496
	;; [unrolled: 3-line block ×125, first 2 shown]
	s_wait_loadcnt 0x0
	global_store_b32 v[1:2], v5, off offset:8
	global_load_b32 v4, v[3:4], off
	v_lshlrev_b32_e32 v3, 2, v0
	ds_store_b32 v3, v6
	s_wait_loadcnt 0x0
	global_store_b32 v[1:2], v4, off offset:4
	s_wait_storecnt_dscnt 0x0
	s_barrier_signal -1
	s_barrier_wait -1
	global_inv scope:SCOPE_SE
	v_cmpx_ne_u32_e32 0, v0
	s_cbranch_execz .LBB40_2
; %bb.1:
	v_add_nc_u32_e32 v0, -4, v3
	ds_load_b32 v0, v0
	s_wait_dscnt 0x0
	global_store_b32 v[1:2], v0, off
.LBB40_2:
	s_endpgm
	.section	.rodata,"a",@progbits
	.p2align	6, 0x0
	.amdhsa_kernel _Z17shuffle_up_kernelILj377ELj128EjEvPT1_S1_
		.amdhsa_group_segment_fixed_size 1508
		.amdhsa_private_segment_fixed_size 0
		.amdhsa_kernarg_size 16
		.amdhsa_user_sgpr_count 2
		.amdhsa_user_sgpr_dispatch_ptr 0
		.amdhsa_user_sgpr_queue_ptr 0
		.amdhsa_user_sgpr_kernarg_segment_ptr 1
		.amdhsa_user_sgpr_dispatch_id 0
		.amdhsa_user_sgpr_private_segment_size 0
		.amdhsa_wavefront_size32 1
		.amdhsa_uses_dynamic_stack 0
		.amdhsa_enable_private_segment 0
		.amdhsa_system_sgpr_workgroup_id_x 1
		.amdhsa_system_sgpr_workgroup_id_y 0
		.amdhsa_system_sgpr_workgroup_id_z 0
		.amdhsa_system_sgpr_workgroup_info 0
		.amdhsa_system_vgpr_workitem_id 0
		.amdhsa_next_free_vgpr 7
		.amdhsa_next_free_sgpr 5
		.amdhsa_reserve_vcc 1
		.amdhsa_float_round_mode_32 0
		.amdhsa_float_round_mode_16_64 0
		.amdhsa_float_denorm_mode_32 3
		.amdhsa_float_denorm_mode_16_64 3
		.amdhsa_fp16_overflow 0
		.amdhsa_workgroup_processor_mode 1
		.amdhsa_memory_ordered 1
		.amdhsa_forward_progress 1
		.amdhsa_inst_pref_size 30
		.amdhsa_round_robin_scheduling 0
		.amdhsa_exception_fp_ieee_invalid_op 0
		.amdhsa_exception_fp_denorm_src 0
		.amdhsa_exception_fp_ieee_div_zero 0
		.amdhsa_exception_fp_ieee_overflow 0
		.amdhsa_exception_fp_ieee_underflow 0
		.amdhsa_exception_fp_ieee_inexact 0
		.amdhsa_exception_int_div_zero 0
	.end_amdhsa_kernel
	.section	.text._Z17shuffle_up_kernelILj377ELj128EjEvPT1_S1_,"axG",@progbits,_Z17shuffle_up_kernelILj377ELj128EjEvPT1_S1_,comdat
.Lfunc_end40:
	.size	_Z17shuffle_up_kernelILj377ELj128EjEvPT1_S1_, .Lfunc_end40-_Z17shuffle_up_kernelILj377ELj128EjEvPT1_S1_
                                        ; -- End function
	.set _Z17shuffle_up_kernelILj377ELj128EjEvPT1_S1_.num_vgpr, 7
	.set _Z17shuffle_up_kernelILj377ELj128EjEvPT1_S1_.num_agpr, 0
	.set _Z17shuffle_up_kernelILj377ELj128EjEvPT1_S1_.numbered_sgpr, 5
	.set _Z17shuffle_up_kernelILj377ELj128EjEvPT1_S1_.num_named_barrier, 0
	.set _Z17shuffle_up_kernelILj377ELj128EjEvPT1_S1_.private_seg_size, 0
	.set _Z17shuffle_up_kernelILj377ELj128EjEvPT1_S1_.uses_vcc, 1
	.set _Z17shuffle_up_kernelILj377ELj128EjEvPT1_S1_.uses_flat_scratch, 0
	.set _Z17shuffle_up_kernelILj377ELj128EjEvPT1_S1_.has_dyn_sized_stack, 0
	.set _Z17shuffle_up_kernelILj377ELj128EjEvPT1_S1_.has_recursion, 0
	.set _Z17shuffle_up_kernelILj377ELj128EjEvPT1_S1_.has_indirect_call, 0
	.section	.AMDGPU.csdata,"",@progbits
; Kernel info:
; codeLenInByte = 3716
; TotalNumSgprs: 7
; NumVgprs: 7
; ScratchSize: 0
; MemoryBound: 1
; FloatMode: 240
; IeeeMode: 1
; LDSByteSize: 1508 bytes/workgroup (compile time only)
; SGPRBlocks: 0
; VGPRBlocks: 0
; NumSGPRsForWavesPerEU: 7
; NumVGPRsForWavesPerEU: 7
; Occupancy: 16
; WaveLimiterHint : 1
; COMPUTE_PGM_RSRC2:SCRATCH_EN: 0
; COMPUTE_PGM_RSRC2:USER_SGPR: 2
; COMPUTE_PGM_RSRC2:TRAP_HANDLER: 0
; COMPUTE_PGM_RSRC2:TGID_X_EN: 1
; COMPUTE_PGM_RSRC2:TGID_Y_EN: 0
; COMPUTE_PGM_RSRC2:TGID_Z_EN: 0
; COMPUTE_PGM_RSRC2:TIDIG_COMP_CNT: 0
	.section	.text._Z17shuffle_up_kernelILj256ELj128EjEvPT1_S1_,"axG",@progbits,_Z17shuffle_up_kernelILj256ELj128EjEvPT1_S1_,comdat
	.protected	_Z17shuffle_up_kernelILj256ELj128EjEvPT1_S1_ ; -- Begin function _Z17shuffle_up_kernelILj256ELj128EjEvPT1_S1_
	.globl	_Z17shuffle_up_kernelILj256ELj128EjEvPT1_S1_
	.p2align	8
	.type	_Z17shuffle_up_kernelILj256ELj128EjEvPT1_S1_,@function
_Z17shuffle_up_kernelILj256ELj128EjEvPT1_S1_: ; @_Z17shuffle_up_kernelILj256ELj128EjEvPT1_S1_
; %bb.0:
	s_load_b128 s[0:3], s[0:1], 0x0
	v_dual_mov_b32 v2, 0 :: v_dual_lshlrev_b32 v1, 7, v0
	s_delay_alu instid0(VALU_DEP_1) | instskip(NEXT) | instid1(VALU_DEP_1)
	v_lshl_or_b32 v1, ttmp9, 15, v1
	v_lshlrev_b64_e32 v[1:2], 2, v[1:2]
	s_wait_kmcnt 0x0
	s_delay_alu instid0(VALU_DEP_1) | instskip(NEXT) | instid1(VALU_DEP_1)
	v_add_co_u32 v3, vcc_lo, s0, v1
	v_add_co_ci_u32_e64 v4, null, s1, v2, vcc_lo
	v_add_co_u32 v1, vcc_lo, s2, v1
	s_wait_alu 0xfffd
	v_add_co_ci_u32_e64 v2, null, s3, v2, vcc_lo
	global_load_b64 v[5:6], v[3:4], off offset:504
	s_mov_b32 s0, exec_lo
	s_wait_loadcnt 0x0
	global_store_b32 v[1:2], v5, off offset:508
	global_load_b32 v5, v[3:4], off offset:500
	s_wait_loadcnt 0x0
	global_store_b32 v[1:2], v5, off offset:504
	global_load_b32 v5, v[3:4], off offset:496
	;; [unrolled: 3-line block ×125, first 2 shown]
	s_wait_loadcnt 0x0
	global_store_b32 v[1:2], v5, off offset:8
	global_load_b32 v4, v[3:4], off
	v_lshlrev_b32_e32 v3, 2, v0
	ds_store_b32 v3, v6
	s_wait_loadcnt 0x0
	global_store_b32 v[1:2], v4, off offset:4
	s_wait_storecnt_dscnt 0x0
	s_barrier_signal -1
	s_barrier_wait -1
	global_inv scope:SCOPE_SE
	v_cmpx_ne_u32_e32 0, v0
	s_cbranch_execz .LBB41_2
; %bb.1:
	v_add_nc_u32_e32 v0, -4, v3
	ds_load_b32 v0, v0
	s_wait_dscnt 0x0
	global_store_b32 v[1:2], v0, off
.LBB41_2:
	s_endpgm
	.section	.rodata,"a",@progbits
	.p2align	6, 0x0
	.amdhsa_kernel _Z17shuffle_up_kernelILj256ELj128EjEvPT1_S1_
		.amdhsa_group_segment_fixed_size 1024
		.amdhsa_private_segment_fixed_size 0
		.amdhsa_kernarg_size 16
		.amdhsa_user_sgpr_count 2
		.amdhsa_user_sgpr_dispatch_ptr 0
		.amdhsa_user_sgpr_queue_ptr 0
		.amdhsa_user_sgpr_kernarg_segment_ptr 1
		.amdhsa_user_sgpr_dispatch_id 0
		.amdhsa_user_sgpr_private_segment_size 0
		.amdhsa_wavefront_size32 1
		.amdhsa_uses_dynamic_stack 0
		.amdhsa_enable_private_segment 0
		.amdhsa_system_sgpr_workgroup_id_x 1
		.amdhsa_system_sgpr_workgroup_id_y 0
		.amdhsa_system_sgpr_workgroup_id_z 0
		.amdhsa_system_sgpr_workgroup_info 0
		.amdhsa_system_vgpr_workitem_id 0
		.amdhsa_next_free_vgpr 7
		.amdhsa_next_free_sgpr 4
		.amdhsa_reserve_vcc 1
		.amdhsa_float_round_mode_32 0
		.amdhsa_float_round_mode_16_64 0
		.amdhsa_float_denorm_mode_32 3
		.amdhsa_float_denorm_mode_16_64 3
		.amdhsa_fp16_overflow 0
		.amdhsa_workgroup_processor_mode 1
		.amdhsa_memory_ordered 1
		.amdhsa_forward_progress 1
		.amdhsa_inst_pref_size 29
		.amdhsa_round_robin_scheduling 0
		.amdhsa_exception_fp_ieee_invalid_op 0
		.amdhsa_exception_fp_denorm_src 0
		.amdhsa_exception_fp_ieee_div_zero 0
		.amdhsa_exception_fp_ieee_overflow 0
		.amdhsa_exception_fp_ieee_underflow 0
		.amdhsa_exception_fp_ieee_inexact 0
		.amdhsa_exception_int_div_zero 0
	.end_amdhsa_kernel
	.section	.text._Z17shuffle_up_kernelILj256ELj128EjEvPT1_S1_,"axG",@progbits,_Z17shuffle_up_kernelILj256ELj128EjEvPT1_S1_,comdat
.Lfunc_end41:
	.size	_Z17shuffle_up_kernelILj256ELj128EjEvPT1_S1_, .Lfunc_end41-_Z17shuffle_up_kernelILj256ELj128EjEvPT1_S1_
                                        ; -- End function
	.set _Z17shuffle_up_kernelILj256ELj128EjEvPT1_S1_.num_vgpr, 7
	.set _Z17shuffle_up_kernelILj256ELj128EjEvPT1_S1_.num_agpr, 0
	.set _Z17shuffle_up_kernelILj256ELj128EjEvPT1_S1_.numbered_sgpr, 4
	.set _Z17shuffle_up_kernelILj256ELj128EjEvPT1_S1_.num_named_barrier, 0
	.set _Z17shuffle_up_kernelILj256ELj128EjEvPT1_S1_.private_seg_size, 0
	.set _Z17shuffle_up_kernelILj256ELj128EjEvPT1_S1_.uses_vcc, 1
	.set _Z17shuffle_up_kernelILj256ELj128EjEvPT1_S1_.uses_flat_scratch, 0
	.set _Z17shuffle_up_kernelILj256ELj128EjEvPT1_S1_.has_dyn_sized_stack, 0
	.set _Z17shuffle_up_kernelILj256ELj128EjEvPT1_S1_.has_recursion, 0
	.set _Z17shuffle_up_kernelILj256ELj128EjEvPT1_S1_.has_indirect_call, 0
	.section	.AMDGPU.csdata,"",@progbits
; Kernel info:
; codeLenInByte = 3712
; TotalNumSgprs: 6
; NumVgprs: 7
; ScratchSize: 0
; MemoryBound: 1
; FloatMode: 240
; IeeeMode: 1
; LDSByteSize: 1024 bytes/workgroup (compile time only)
; SGPRBlocks: 0
; VGPRBlocks: 0
; NumSGPRsForWavesPerEU: 6
; NumVGPRsForWavesPerEU: 7
; Occupancy: 16
; WaveLimiterHint : 1
; COMPUTE_PGM_RSRC2:SCRATCH_EN: 0
; COMPUTE_PGM_RSRC2:USER_SGPR: 2
; COMPUTE_PGM_RSRC2:TRAP_HANDLER: 0
; COMPUTE_PGM_RSRC2:TGID_X_EN: 1
; COMPUTE_PGM_RSRC2:TGID_Y_EN: 0
; COMPUTE_PGM_RSRC2:TGID_Z_EN: 0
; COMPUTE_PGM_RSRC2:TIDIG_COMP_CNT: 0
	.section	.text._Z17shuffle_up_kernelILj64ELj128EjEvPT1_S1_,"axG",@progbits,_Z17shuffle_up_kernelILj64ELj128EjEvPT1_S1_,comdat
	.protected	_Z17shuffle_up_kernelILj64ELj128EjEvPT1_S1_ ; -- Begin function _Z17shuffle_up_kernelILj64ELj128EjEvPT1_S1_
	.globl	_Z17shuffle_up_kernelILj64ELj128EjEvPT1_S1_
	.p2align	8
	.type	_Z17shuffle_up_kernelILj64ELj128EjEvPT1_S1_,@function
_Z17shuffle_up_kernelILj64ELj128EjEvPT1_S1_: ; @_Z17shuffle_up_kernelILj64ELj128EjEvPT1_S1_
; %bb.0:
	s_load_b128 s[0:3], s[0:1], 0x0
	v_dual_mov_b32 v2, 0 :: v_dual_lshlrev_b32 v1, 7, v0
	s_delay_alu instid0(VALU_DEP_1) | instskip(NEXT) | instid1(VALU_DEP_1)
	v_lshl_or_b32 v1, ttmp9, 13, v1
	v_lshlrev_b64_e32 v[1:2], 2, v[1:2]
	s_wait_kmcnt 0x0
	s_delay_alu instid0(VALU_DEP_1) | instskip(NEXT) | instid1(VALU_DEP_1)
	v_add_co_u32 v3, vcc_lo, s0, v1
	v_add_co_ci_u32_e64 v4, null, s1, v2, vcc_lo
	v_add_co_u32 v1, vcc_lo, s2, v1
	s_wait_alu 0xfffd
	v_add_co_ci_u32_e64 v2, null, s3, v2, vcc_lo
	global_load_b64 v[5:6], v[3:4], off offset:504
	s_mov_b32 s0, exec_lo
	s_wait_loadcnt 0x0
	global_store_b32 v[1:2], v5, off offset:508
	global_load_b32 v5, v[3:4], off offset:500
	s_wait_loadcnt 0x0
	global_store_b32 v[1:2], v5, off offset:504
	global_load_b32 v5, v[3:4], off offset:496
	s_wait_loadcnt 0x0
	global_store_b32 v[1:2], v5, off offset:500
	global_load_b32 v5, v[3:4], off offset:492
	s_wait_loadcnt 0x0
	global_store_b32 v[1:2], v5, off offset:496
	global_load_b32 v5, v[3:4], off offset:488
	s_wait_loadcnt 0x0
	global_store_b32 v[1:2], v5, off offset:492
	global_load_b32 v5, v[3:4], off offset:484
	s_wait_loadcnt 0x0
	global_store_b32 v[1:2], v5, off offset:488
	global_load_b32 v5, v[3:4], off offset:480
	s_wait_loadcnt 0x0
	global_store_b32 v[1:2], v5, off offset:484
	global_load_b32 v5, v[3:4], off offset:476
	s_wait_loadcnt 0x0
	global_store_b32 v[1:2], v5, off offset:480
	global_load_b32 v5, v[3:4], off offset:472
	s_wait_loadcnt 0x0
	global_store_b32 v[1:2], v5, off offset:476
	global_load_b32 v5, v[3:4], off offset:468
	s_wait_loadcnt 0x0
	global_store_b32 v[1:2], v5, off offset:472
	global_load_b32 v5, v[3:4], off offset:464
	s_wait_loadcnt 0x0
	global_store_b32 v[1:2], v5, off offset:468
	global_load_b32 v5, v[3:4], off offset:460
	s_wait_loadcnt 0x0
	global_store_b32 v[1:2], v5, off offset:464
	global_load_b32 v5, v[3:4], off offset:456
	s_wait_loadcnt 0x0
	global_store_b32 v[1:2], v5, off offset:460
	global_load_b32 v5, v[3:4], off offset:452
	s_wait_loadcnt 0x0
	global_store_b32 v[1:2], v5, off offset:456
	global_load_b32 v5, v[3:4], off offset:448
	s_wait_loadcnt 0x0
	global_store_b32 v[1:2], v5, off offset:452
	global_load_b32 v5, v[3:4], off offset:444
	s_wait_loadcnt 0x0
	global_store_b32 v[1:2], v5, off offset:448
	global_load_b32 v5, v[3:4], off offset:440
	s_wait_loadcnt 0x0
	global_store_b32 v[1:2], v5, off offset:444
	global_load_b32 v5, v[3:4], off offset:436
	s_wait_loadcnt 0x0
	global_store_b32 v[1:2], v5, off offset:440
	global_load_b32 v5, v[3:4], off offset:432
	s_wait_loadcnt 0x0
	global_store_b32 v[1:2], v5, off offset:436
	global_load_b32 v5, v[3:4], off offset:428
	s_wait_loadcnt 0x0
	global_store_b32 v[1:2], v5, off offset:432
	global_load_b32 v5, v[3:4], off offset:424
	s_wait_loadcnt 0x0
	global_store_b32 v[1:2], v5, off offset:428
	global_load_b32 v5, v[3:4], off offset:420
	s_wait_loadcnt 0x0
	global_store_b32 v[1:2], v5, off offset:424
	global_load_b32 v5, v[3:4], off offset:416
	s_wait_loadcnt 0x0
	global_store_b32 v[1:2], v5, off offset:420
	global_load_b32 v5, v[3:4], off offset:412
	s_wait_loadcnt 0x0
	global_store_b32 v[1:2], v5, off offset:416
	global_load_b32 v5, v[3:4], off offset:408
	s_wait_loadcnt 0x0
	global_store_b32 v[1:2], v5, off offset:412
	global_load_b32 v5, v[3:4], off offset:404
	s_wait_loadcnt 0x0
	global_store_b32 v[1:2], v5, off offset:408
	global_load_b32 v5, v[3:4], off offset:400
	s_wait_loadcnt 0x0
	global_store_b32 v[1:2], v5, off offset:404
	global_load_b32 v5, v[3:4], off offset:396
	s_wait_loadcnt 0x0
	global_store_b32 v[1:2], v5, off offset:400
	global_load_b32 v5, v[3:4], off offset:392
	s_wait_loadcnt 0x0
	global_store_b32 v[1:2], v5, off offset:396
	global_load_b32 v5, v[3:4], off offset:388
	s_wait_loadcnt 0x0
	global_store_b32 v[1:2], v5, off offset:392
	global_load_b32 v5, v[3:4], off offset:384
	s_wait_loadcnt 0x0
	global_store_b32 v[1:2], v5, off offset:388
	global_load_b32 v5, v[3:4], off offset:380
	s_wait_loadcnt 0x0
	global_store_b32 v[1:2], v5, off offset:384
	global_load_b32 v5, v[3:4], off offset:376
	s_wait_loadcnt 0x0
	global_store_b32 v[1:2], v5, off offset:380
	global_load_b32 v5, v[3:4], off offset:372
	s_wait_loadcnt 0x0
	global_store_b32 v[1:2], v5, off offset:376
	global_load_b32 v5, v[3:4], off offset:368
	s_wait_loadcnt 0x0
	global_store_b32 v[1:2], v5, off offset:372
	global_load_b32 v5, v[3:4], off offset:364
	s_wait_loadcnt 0x0
	global_store_b32 v[1:2], v5, off offset:368
	global_load_b32 v5, v[3:4], off offset:360
	s_wait_loadcnt 0x0
	global_store_b32 v[1:2], v5, off offset:364
	global_load_b32 v5, v[3:4], off offset:356
	s_wait_loadcnt 0x0
	global_store_b32 v[1:2], v5, off offset:360
	global_load_b32 v5, v[3:4], off offset:352
	s_wait_loadcnt 0x0
	global_store_b32 v[1:2], v5, off offset:356
	global_load_b32 v5, v[3:4], off offset:348
	s_wait_loadcnt 0x0
	global_store_b32 v[1:2], v5, off offset:352
	global_load_b32 v5, v[3:4], off offset:344
	s_wait_loadcnt 0x0
	global_store_b32 v[1:2], v5, off offset:348
	global_load_b32 v5, v[3:4], off offset:340
	s_wait_loadcnt 0x0
	global_store_b32 v[1:2], v5, off offset:344
	global_load_b32 v5, v[3:4], off offset:336
	s_wait_loadcnt 0x0
	global_store_b32 v[1:2], v5, off offset:340
	global_load_b32 v5, v[3:4], off offset:332
	s_wait_loadcnt 0x0
	global_store_b32 v[1:2], v5, off offset:336
	global_load_b32 v5, v[3:4], off offset:328
	s_wait_loadcnt 0x0
	global_store_b32 v[1:2], v5, off offset:332
	global_load_b32 v5, v[3:4], off offset:324
	s_wait_loadcnt 0x0
	global_store_b32 v[1:2], v5, off offset:328
	global_load_b32 v5, v[3:4], off offset:320
	s_wait_loadcnt 0x0
	global_store_b32 v[1:2], v5, off offset:324
	global_load_b32 v5, v[3:4], off offset:316
	s_wait_loadcnt 0x0
	global_store_b32 v[1:2], v5, off offset:320
	global_load_b32 v5, v[3:4], off offset:312
	s_wait_loadcnt 0x0
	global_store_b32 v[1:2], v5, off offset:316
	global_load_b32 v5, v[3:4], off offset:308
	s_wait_loadcnt 0x0
	global_store_b32 v[1:2], v5, off offset:312
	global_load_b32 v5, v[3:4], off offset:304
	s_wait_loadcnt 0x0
	global_store_b32 v[1:2], v5, off offset:308
	global_load_b32 v5, v[3:4], off offset:300
	s_wait_loadcnt 0x0
	global_store_b32 v[1:2], v5, off offset:304
	global_load_b32 v5, v[3:4], off offset:296
	s_wait_loadcnt 0x0
	global_store_b32 v[1:2], v5, off offset:300
	global_load_b32 v5, v[3:4], off offset:292
	s_wait_loadcnt 0x0
	global_store_b32 v[1:2], v5, off offset:296
	global_load_b32 v5, v[3:4], off offset:288
	s_wait_loadcnt 0x0
	global_store_b32 v[1:2], v5, off offset:292
	global_load_b32 v5, v[3:4], off offset:284
	s_wait_loadcnt 0x0
	global_store_b32 v[1:2], v5, off offset:288
	global_load_b32 v5, v[3:4], off offset:280
	s_wait_loadcnt 0x0
	global_store_b32 v[1:2], v5, off offset:284
	global_load_b32 v5, v[3:4], off offset:276
	s_wait_loadcnt 0x0
	global_store_b32 v[1:2], v5, off offset:280
	global_load_b32 v5, v[3:4], off offset:272
	s_wait_loadcnt 0x0
	global_store_b32 v[1:2], v5, off offset:276
	global_load_b32 v5, v[3:4], off offset:268
	s_wait_loadcnt 0x0
	global_store_b32 v[1:2], v5, off offset:272
	global_load_b32 v5, v[3:4], off offset:264
	s_wait_loadcnt 0x0
	global_store_b32 v[1:2], v5, off offset:268
	global_load_b32 v5, v[3:4], off offset:260
	s_wait_loadcnt 0x0
	global_store_b32 v[1:2], v5, off offset:264
	global_load_b32 v5, v[3:4], off offset:256
	s_wait_loadcnt 0x0
	global_store_b32 v[1:2], v5, off offset:260
	global_load_b32 v5, v[3:4], off offset:252
	s_wait_loadcnt 0x0
	global_store_b32 v[1:2], v5, off offset:256
	global_load_b32 v5, v[3:4], off offset:248
	s_wait_loadcnt 0x0
	global_store_b32 v[1:2], v5, off offset:252
	global_load_b32 v5, v[3:4], off offset:244
	s_wait_loadcnt 0x0
	global_store_b32 v[1:2], v5, off offset:248
	global_load_b32 v5, v[3:4], off offset:240
	s_wait_loadcnt 0x0
	global_store_b32 v[1:2], v5, off offset:244
	global_load_b32 v5, v[3:4], off offset:236
	s_wait_loadcnt 0x0
	global_store_b32 v[1:2], v5, off offset:240
	global_load_b32 v5, v[3:4], off offset:232
	s_wait_loadcnt 0x0
	global_store_b32 v[1:2], v5, off offset:236
	global_load_b32 v5, v[3:4], off offset:228
	s_wait_loadcnt 0x0
	global_store_b32 v[1:2], v5, off offset:232
	global_load_b32 v5, v[3:4], off offset:224
	s_wait_loadcnt 0x0
	global_store_b32 v[1:2], v5, off offset:228
	global_load_b32 v5, v[3:4], off offset:220
	s_wait_loadcnt 0x0
	global_store_b32 v[1:2], v5, off offset:224
	global_load_b32 v5, v[3:4], off offset:216
	s_wait_loadcnt 0x0
	global_store_b32 v[1:2], v5, off offset:220
	global_load_b32 v5, v[3:4], off offset:212
	s_wait_loadcnt 0x0
	global_store_b32 v[1:2], v5, off offset:216
	global_load_b32 v5, v[3:4], off offset:208
	s_wait_loadcnt 0x0
	global_store_b32 v[1:2], v5, off offset:212
	global_load_b32 v5, v[3:4], off offset:204
	s_wait_loadcnt 0x0
	global_store_b32 v[1:2], v5, off offset:208
	global_load_b32 v5, v[3:4], off offset:200
	s_wait_loadcnt 0x0
	global_store_b32 v[1:2], v5, off offset:204
	global_load_b32 v5, v[3:4], off offset:196
	s_wait_loadcnt 0x0
	global_store_b32 v[1:2], v5, off offset:200
	global_load_b32 v5, v[3:4], off offset:192
	s_wait_loadcnt 0x0
	global_store_b32 v[1:2], v5, off offset:196
	global_load_b32 v5, v[3:4], off offset:188
	s_wait_loadcnt 0x0
	global_store_b32 v[1:2], v5, off offset:192
	global_load_b32 v5, v[3:4], off offset:184
	s_wait_loadcnt 0x0
	global_store_b32 v[1:2], v5, off offset:188
	global_load_b32 v5, v[3:4], off offset:180
	s_wait_loadcnt 0x0
	global_store_b32 v[1:2], v5, off offset:184
	global_load_b32 v5, v[3:4], off offset:176
	s_wait_loadcnt 0x0
	global_store_b32 v[1:2], v5, off offset:180
	global_load_b32 v5, v[3:4], off offset:172
	s_wait_loadcnt 0x0
	global_store_b32 v[1:2], v5, off offset:176
	global_load_b32 v5, v[3:4], off offset:168
	s_wait_loadcnt 0x0
	global_store_b32 v[1:2], v5, off offset:172
	global_load_b32 v5, v[3:4], off offset:164
	s_wait_loadcnt 0x0
	global_store_b32 v[1:2], v5, off offset:168
	global_load_b32 v5, v[3:4], off offset:160
	s_wait_loadcnt 0x0
	global_store_b32 v[1:2], v5, off offset:164
	global_load_b32 v5, v[3:4], off offset:156
	s_wait_loadcnt 0x0
	global_store_b32 v[1:2], v5, off offset:160
	global_load_b32 v5, v[3:4], off offset:152
	s_wait_loadcnt 0x0
	global_store_b32 v[1:2], v5, off offset:156
	global_load_b32 v5, v[3:4], off offset:148
	s_wait_loadcnt 0x0
	global_store_b32 v[1:2], v5, off offset:152
	global_load_b32 v5, v[3:4], off offset:144
	s_wait_loadcnt 0x0
	global_store_b32 v[1:2], v5, off offset:148
	global_load_b32 v5, v[3:4], off offset:140
	s_wait_loadcnt 0x0
	global_store_b32 v[1:2], v5, off offset:144
	global_load_b32 v5, v[3:4], off offset:136
	s_wait_loadcnt 0x0
	global_store_b32 v[1:2], v5, off offset:140
	global_load_b32 v5, v[3:4], off offset:132
	s_wait_loadcnt 0x0
	global_store_b32 v[1:2], v5, off offset:136
	global_load_b32 v5, v[3:4], off offset:128
	s_wait_loadcnt 0x0
	global_store_b32 v[1:2], v5, off offset:132
	global_load_b32 v5, v[3:4], off offset:124
	s_wait_loadcnt 0x0
	global_store_b32 v[1:2], v5, off offset:128
	global_load_b32 v5, v[3:4], off offset:120
	s_wait_loadcnt 0x0
	global_store_b32 v[1:2], v5, off offset:124
	global_load_b32 v5, v[3:4], off offset:116
	s_wait_loadcnt 0x0
	global_store_b32 v[1:2], v5, off offset:120
	global_load_b32 v5, v[3:4], off offset:112
	s_wait_loadcnt 0x0
	global_store_b32 v[1:2], v5, off offset:116
	global_load_b32 v5, v[3:4], off offset:108
	s_wait_loadcnt 0x0
	global_store_b32 v[1:2], v5, off offset:112
	global_load_b32 v5, v[3:4], off offset:104
	s_wait_loadcnt 0x0
	global_store_b32 v[1:2], v5, off offset:108
	global_load_b32 v5, v[3:4], off offset:100
	s_wait_loadcnt 0x0
	global_store_b32 v[1:2], v5, off offset:104
	global_load_b32 v5, v[3:4], off offset:96
	s_wait_loadcnt 0x0
	global_store_b32 v[1:2], v5, off offset:100
	global_load_b32 v5, v[3:4], off offset:92
	s_wait_loadcnt 0x0
	global_store_b32 v[1:2], v5, off offset:96
	global_load_b32 v5, v[3:4], off offset:88
	s_wait_loadcnt 0x0
	global_store_b32 v[1:2], v5, off offset:92
	global_load_b32 v5, v[3:4], off offset:84
	s_wait_loadcnt 0x0
	global_store_b32 v[1:2], v5, off offset:88
	global_load_b32 v5, v[3:4], off offset:80
	s_wait_loadcnt 0x0
	global_store_b32 v[1:2], v5, off offset:84
	global_load_b32 v5, v[3:4], off offset:76
	s_wait_loadcnt 0x0
	global_store_b32 v[1:2], v5, off offset:80
	global_load_b32 v5, v[3:4], off offset:72
	s_wait_loadcnt 0x0
	global_store_b32 v[1:2], v5, off offset:76
	global_load_b32 v5, v[3:4], off offset:68
	s_wait_loadcnt 0x0
	global_store_b32 v[1:2], v5, off offset:72
	global_load_b32 v5, v[3:4], off offset:64
	s_wait_loadcnt 0x0
	global_store_b32 v[1:2], v5, off offset:68
	global_load_b32 v5, v[3:4], off offset:60
	s_wait_loadcnt 0x0
	global_store_b32 v[1:2], v5, off offset:64
	global_load_b32 v5, v[3:4], off offset:56
	s_wait_loadcnt 0x0
	global_store_b32 v[1:2], v5, off offset:60
	global_load_b32 v5, v[3:4], off offset:52
	s_wait_loadcnt 0x0
	global_store_b32 v[1:2], v5, off offset:56
	global_load_b32 v5, v[3:4], off offset:48
	s_wait_loadcnt 0x0
	global_store_b32 v[1:2], v5, off offset:52
	global_load_b32 v5, v[3:4], off offset:44
	s_wait_loadcnt 0x0
	global_store_b32 v[1:2], v5, off offset:48
	global_load_b32 v5, v[3:4], off offset:40
	s_wait_loadcnt 0x0
	global_store_b32 v[1:2], v5, off offset:44
	global_load_b32 v5, v[3:4], off offset:36
	s_wait_loadcnt 0x0
	global_store_b32 v[1:2], v5, off offset:40
	global_load_b32 v5, v[3:4], off offset:32
	s_wait_loadcnt 0x0
	global_store_b32 v[1:2], v5, off offset:36
	global_load_b32 v5, v[3:4], off offset:28
	s_wait_loadcnt 0x0
	global_store_b32 v[1:2], v5, off offset:32
	global_load_b32 v5, v[3:4], off offset:24
	s_wait_loadcnt 0x0
	global_store_b32 v[1:2], v5, off offset:28
	global_load_b32 v5, v[3:4], off offset:20
	s_wait_loadcnt 0x0
	global_store_b32 v[1:2], v5, off offset:24
	global_load_b32 v5, v[3:4], off offset:16
	s_wait_loadcnt 0x0
	global_store_b32 v[1:2], v5, off offset:20
	global_load_b32 v5, v[3:4], off offset:12
	s_wait_loadcnt 0x0
	global_store_b32 v[1:2], v5, off offset:16
	global_load_b32 v5, v[3:4], off offset:8
	s_wait_loadcnt 0x0
	global_store_b32 v[1:2], v5, off offset:12
	global_load_b32 v5, v[3:4], off offset:4
	s_wait_loadcnt 0x0
	global_store_b32 v[1:2], v5, off offset:8
	global_load_b32 v4, v[3:4], off
	v_lshlrev_b32_e32 v3, 2, v0
	ds_store_b32 v3, v6
	s_wait_loadcnt 0x0
	global_store_b32 v[1:2], v4, off offset:4
	s_wait_storecnt_dscnt 0x0
	s_barrier_signal -1
	s_barrier_wait -1
	global_inv scope:SCOPE_SE
	v_cmpx_ne_u32_e32 0, v0
	s_cbranch_execz .LBB42_2
; %bb.1:
	v_add_nc_u32_e32 v0, -4, v3
	ds_load_b32 v0, v0
	s_wait_dscnt 0x0
	global_store_b32 v[1:2], v0, off
.LBB42_2:
	s_endpgm
	.section	.rodata,"a",@progbits
	.p2align	6, 0x0
	.amdhsa_kernel _Z17shuffle_up_kernelILj64ELj128EjEvPT1_S1_
		.amdhsa_group_segment_fixed_size 256
		.amdhsa_private_segment_fixed_size 0
		.amdhsa_kernarg_size 16
		.amdhsa_user_sgpr_count 2
		.amdhsa_user_sgpr_dispatch_ptr 0
		.amdhsa_user_sgpr_queue_ptr 0
		.amdhsa_user_sgpr_kernarg_segment_ptr 1
		.amdhsa_user_sgpr_dispatch_id 0
		.amdhsa_user_sgpr_private_segment_size 0
		.amdhsa_wavefront_size32 1
		.amdhsa_uses_dynamic_stack 0
		.amdhsa_enable_private_segment 0
		.amdhsa_system_sgpr_workgroup_id_x 1
		.amdhsa_system_sgpr_workgroup_id_y 0
		.amdhsa_system_sgpr_workgroup_id_z 0
		.amdhsa_system_sgpr_workgroup_info 0
		.amdhsa_system_vgpr_workitem_id 0
		.amdhsa_next_free_vgpr 7
		.amdhsa_next_free_sgpr 4
		.amdhsa_reserve_vcc 1
		.amdhsa_float_round_mode_32 0
		.amdhsa_float_round_mode_16_64 0
		.amdhsa_float_denorm_mode_32 3
		.amdhsa_float_denorm_mode_16_64 3
		.amdhsa_fp16_overflow 0
		.amdhsa_workgroup_processor_mode 1
		.amdhsa_memory_ordered 1
		.amdhsa_forward_progress 1
		.amdhsa_inst_pref_size 29
		.amdhsa_round_robin_scheduling 0
		.amdhsa_exception_fp_ieee_invalid_op 0
		.amdhsa_exception_fp_denorm_src 0
		.amdhsa_exception_fp_ieee_div_zero 0
		.amdhsa_exception_fp_ieee_overflow 0
		.amdhsa_exception_fp_ieee_underflow 0
		.amdhsa_exception_fp_ieee_inexact 0
		.amdhsa_exception_int_div_zero 0
	.end_amdhsa_kernel
	.section	.text._Z17shuffle_up_kernelILj64ELj128EjEvPT1_S1_,"axG",@progbits,_Z17shuffle_up_kernelILj64ELj128EjEvPT1_S1_,comdat
.Lfunc_end42:
	.size	_Z17shuffle_up_kernelILj64ELj128EjEvPT1_S1_, .Lfunc_end42-_Z17shuffle_up_kernelILj64ELj128EjEvPT1_S1_
                                        ; -- End function
	.set _Z17shuffle_up_kernelILj64ELj128EjEvPT1_S1_.num_vgpr, 7
	.set _Z17shuffle_up_kernelILj64ELj128EjEvPT1_S1_.num_agpr, 0
	.set _Z17shuffle_up_kernelILj64ELj128EjEvPT1_S1_.numbered_sgpr, 4
	.set _Z17shuffle_up_kernelILj64ELj128EjEvPT1_S1_.num_named_barrier, 0
	.set _Z17shuffle_up_kernelILj64ELj128EjEvPT1_S1_.private_seg_size, 0
	.set _Z17shuffle_up_kernelILj64ELj128EjEvPT1_S1_.uses_vcc, 1
	.set _Z17shuffle_up_kernelILj64ELj128EjEvPT1_S1_.uses_flat_scratch, 0
	.set _Z17shuffle_up_kernelILj64ELj128EjEvPT1_S1_.has_dyn_sized_stack, 0
	.set _Z17shuffle_up_kernelILj64ELj128EjEvPT1_S1_.has_recursion, 0
	.set _Z17shuffle_up_kernelILj64ELj128EjEvPT1_S1_.has_indirect_call, 0
	.section	.AMDGPU.csdata,"",@progbits
; Kernel info:
; codeLenInByte = 3712
; TotalNumSgprs: 6
; NumVgprs: 7
; ScratchSize: 0
; MemoryBound: 1
; FloatMode: 240
; IeeeMode: 1
; LDSByteSize: 256 bytes/workgroup (compile time only)
; SGPRBlocks: 0
; VGPRBlocks: 0
; NumSGPRsForWavesPerEU: 6
; NumVGPRsForWavesPerEU: 7
; Occupancy: 16
; WaveLimiterHint : 1
; COMPUTE_PGM_RSRC2:SCRATCH_EN: 0
; COMPUTE_PGM_RSRC2:USER_SGPR: 2
; COMPUTE_PGM_RSRC2:TRAP_HANDLER: 0
; COMPUTE_PGM_RSRC2:TGID_X_EN: 1
; COMPUTE_PGM_RSRC2:TGID_Y_EN: 0
; COMPUTE_PGM_RSRC2:TGID_Z_EN: 0
; COMPUTE_PGM_RSRC2:TIDIG_COMP_CNT: 0
	.section	.text._Z17shuffle_up_kernelILj255ELj128EiEvPT1_S1_,"axG",@progbits,_Z17shuffle_up_kernelILj255ELj128EiEvPT1_S1_,comdat
	.protected	_Z17shuffle_up_kernelILj255ELj128EiEvPT1_S1_ ; -- Begin function _Z17shuffle_up_kernelILj255ELj128EiEvPT1_S1_
	.globl	_Z17shuffle_up_kernelILj255ELj128EiEvPT1_S1_
	.p2align	8
	.type	_Z17shuffle_up_kernelILj255ELj128EiEvPT1_S1_,@function
_Z17shuffle_up_kernelILj255ELj128EiEvPT1_S1_: ; @_Z17shuffle_up_kernelILj255ELj128EiEvPT1_S1_
; %bb.0:
	s_load_b128 s[0:3], s[0:1], 0x0
	s_mul_i32 s4, ttmp9, 0xff
	v_mov_b32_e32 v2, 0
	v_add_lshl_u32 v1, s4, v0, 7
	s_delay_alu instid0(VALU_DEP_1) | instskip(SKIP_1) | instid1(VALU_DEP_1)
	v_lshlrev_b64_e32 v[1:2], 2, v[1:2]
	s_wait_kmcnt 0x0
	v_add_co_u32 v3, vcc_lo, s0, v1
	s_delay_alu instid0(VALU_DEP_1)
	v_add_co_ci_u32_e64 v4, null, s1, v2, vcc_lo
	v_add_co_u32 v1, vcc_lo, s2, v1
	s_wait_alu 0xfffd
	v_add_co_ci_u32_e64 v2, null, s3, v2, vcc_lo
	global_load_b64 v[5:6], v[3:4], off offset:504
	s_mov_b32 s0, exec_lo
	s_wait_loadcnt 0x0
	global_store_b32 v[1:2], v5, off offset:508
	global_load_b32 v5, v[3:4], off offset:500
	s_wait_loadcnt 0x0
	global_store_b32 v[1:2], v5, off offset:504
	global_load_b32 v5, v[3:4], off offset:496
	;; [unrolled: 3-line block ×125, first 2 shown]
	s_wait_loadcnt 0x0
	global_store_b32 v[1:2], v5, off offset:8
	global_load_b32 v4, v[3:4], off
	v_lshlrev_b32_e32 v3, 2, v0
	ds_store_b32 v3, v6
	s_wait_loadcnt 0x0
	global_store_b32 v[1:2], v4, off offset:4
	s_wait_storecnt_dscnt 0x0
	s_barrier_signal -1
	s_barrier_wait -1
	global_inv scope:SCOPE_SE
	v_cmpx_ne_u32_e32 0, v0
	s_cbranch_execz .LBB43_2
; %bb.1:
	v_add_nc_u32_e32 v0, -4, v3
	ds_load_b32 v0, v0
	s_wait_dscnt 0x0
	global_store_b32 v[1:2], v0, off
.LBB43_2:
	s_endpgm
	.section	.rodata,"a",@progbits
	.p2align	6, 0x0
	.amdhsa_kernel _Z17shuffle_up_kernelILj255ELj128EiEvPT1_S1_
		.amdhsa_group_segment_fixed_size 1020
		.amdhsa_private_segment_fixed_size 0
		.amdhsa_kernarg_size 16
		.amdhsa_user_sgpr_count 2
		.amdhsa_user_sgpr_dispatch_ptr 0
		.amdhsa_user_sgpr_queue_ptr 0
		.amdhsa_user_sgpr_kernarg_segment_ptr 1
		.amdhsa_user_sgpr_dispatch_id 0
		.amdhsa_user_sgpr_private_segment_size 0
		.amdhsa_wavefront_size32 1
		.amdhsa_uses_dynamic_stack 0
		.amdhsa_enable_private_segment 0
		.amdhsa_system_sgpr_workgroup_id_x 1
		.amdhsa_system_sgpr_workgroup_id_y 0
		.amdhsa_system_sgpr_workgroup_id_z 0
		.amdhsa_system_sgpr_workgroup_info 0
		.amdhsa_system_vgpr_workitem_id 0
		.amdhsa_next_free_vgpr 7
		.amdhsa_next_free_sgpr 5
		.amdhsa_reserve_vcc 1
		.amdhsa_float_round_mode_32 0
		.amdhsa_float_round_mode_16_64 0
		.amdhsa_float_denorm_mode_32 3
		.amdhsa_float_denorm_mode_16_64 3
		.amdhsa_fp16_overflow 0
		.amdhsa_workgroup_processor_mode 1
		.amdhsa_memory_ordered 1
		.amdhsa_forward_progress 1
		.amdhsa_inst_pref_size 30
		.amdhsa_round_robin_scheduling 0
		.amdhsa_exception_fp_ieee_invalid_op 0
		.amdhsa_exception_fp_denorm_src 0
		.amdhsa_exception_fp_ieee_div_zero 0
		.amdhsa_exception_fp_ieee_overflow 0
		.amdhsa_exception_fp_ieee_underflow 0
		.amdhsa_exception_fp_ieee_inexact 0
		.amdhsa_exception_int_div_zero 0
	.end_amdhsa_kernel
	.section	.text._Z17shuffle_up_kernelILj255ELj128EiEvPT1_S1_,"axG",@progbits,_Z17shuffle_up_kernelILj255ELj128EiEvPT1_S1_,comdat
.Lfunc_end43:
	.size	_Z17shuffle_up_kernelILj255ELj128EiEvPT1_S1_, .Lfunc_end43-_Z17shuffle_up_kernelILj255ELj128EiEvPT1_S1_
                                        ; -- End function
	.set _Z17shuffle_up_kernelILj255ELj128EiEvPT1_S1_.num_vgpr, 7
	.set _Z17shuffle_up_kernelILj255ELj128EiEvPT1_S1_.num_agpr, 0
	.set _Z17shuffle_up_kernelILj255ELj128EiEvPT1_S1_.numbered_sgpr, 5
	.set _Z17shuffle_up_kernelILj255ELj128EiEvPT1_S1_.num_named_barrier, 0
	.set _Z17shuffle_up_kernelILj255ELj128EiEvPT1_S1_.private_seg_size, 0
	.set _Z17shuffle_up_kernelILj255ELj128EiEvPT1_S1_.uses_vcc, 1
	.set _Z17shuffle_up_kernelILj255ELj128EiEvPT1_S1_.uses_flat_scratch, 0
	.set _Z17shuffle_up_kernelILj255ELj128EiEvPT1_S1_.has_dyn_sized_stack, 0
	.set _Z17shuffle_up_kernelILj255ELj128EiEvPT1_S1_.has_recursion, 0
	.set _Z17shuffle_up_kernelILj255ELj128EiEvPT1_S1_.has_indirect_call, 0
	.section	.AMDGPU.csdata,"",@progbits
; Kernel info:
; codeLenInByte = 3716
; TotalNumSgprs: 7
; NumVgprs: 7
; ScratchSize: 0
; MemoryBound: 1
; FloatMode: 240
; IeeeMode: 1
; LDSByteSize: 1020 bytes/workgroup (compile time only)
; SGPRBlocks: 0
; VGPRBlocks: 0
; NumSGPRsForWavesPerEU: 7
; NumVGPRsForWavesPerEU: 7
; Occupancy: 16
; WaveLimiterHint : 1
; COMPUTE_PGM_RSRC2:SCRATCH_EN: 0
; COMPUTE_PGM_RSRC2:USER_SGPR: 2
; COMPUTE_PGM_RSRC2:TRAP_HANDLER: 0
; COMPUTE_PGM_RSRC2:TGID_X_EN: 1
; COMPUTE_PGM_RSRC2:TGID_Y_EN: 0
; COMPUTE_PGM_RSRC2:TGID_Z_EN: 0
; COMPUTE_PGM_RSRC2:TIDIG_COMP_CNT: 0
	.section	.text._Z17shuffle_up_kernelILj162ELj128EiEvPT1_S1_,"axG",@progbits,_Z17shuffle_up_kernelILj162ELj128EiEvPT1_S1_,comdat
	.protected	_Z17shuffle_up_kernelILj162ELj128EiEvPT1_S1_ ; -- Begin function _Z17shuffle_up_kernelILj162ELj128EiEvPT1_S1_
	.globl	_Z17shuffle_up_kernelILj162ELj128EiEvPT1_S1_
	.p2align	8
	.type	_Z17shuffle_up_kernelILj162ELj128EiEvPT1_S1_,@function
_Z17shuffle_up_kernelILj162ELj128EiEvPT1_S1_: ; @_Z17shuffle_up_kernelILj162ELj128EiEvPT1_S1_
; %bb.0:
	s_load_b128 s[0:3], s[0:1], 0x0
	s_mul_i32 s4, ttmp9, 0xa2
	v_mov_b32_e32 v2, 0
	v_add_lshl_u32 v1, s4, v0, 7
	s_delay_alu instid0(VALU_DEP_1) | instskip(SKIP_1) | instid1(VALU_DEP_1)
	v_lshlrev_b64_e32 v[1:2], 2, v[1:2]
	s_wait_kmcnt 0x0
	v_add_co_u32 v3, vcc_lo, s0, v1
	s_delay_alu instid0(VALU_DEP_1)
	v_add_co_ci_u32_e64 v4, null, s1, v2, vcc_lo
	v_add_co_u32 v1, vcc_lo, s2, v1
	s_wait_alu 0xfffd
	v_add_co_ci_u32_e64 v2, null, s3, v2, vcc_lo
	global_load_b64 v[5:6], v[3:4], off offset:504
	s_mov_b32 s0, exec_lo
	s_wait_loadcnt 0x0
	global_store_b32 v[1:2], v5, off offset:508
	global_load_b32 v5, v[3:4], off offset:500
	s_wait_loadcnt 0x0
	global_store_b32 v[1:2], v5, off offset:504
	global_load_b32 v5, v[3:4], off offset:496
	s_wait_loadcnt 0x0
	global_store_b32 v[1:2], v5, off offset:500
	global_load_b32 v5, v[3:4], off offset:492
	s_wait_loadcnt 0x0
	global_store_b32 v[1:2], v5, off offset:496
	global_load_b32 v5, v[3:4], off offset:488
	s_wait_loadcnt 0x0
	global_store_b32 v[1:2], v5, off offset:492
	global_load_b32 v5, v[3:4], off offset:484
	s_wait_loadcnt 0x0
	global_store_b32 v[1:2], v5, off offset:488
	global_load_b32 v5, v[3:4], off offset:480
	s_wait_loadcnt 0x0
	global_store_b32 v[1:2], v5, off offset:484
	global_load_b32 v5, v[3:4], off offset:476
	s_wait_loadcnt 0x0
	global_store_b32 v[1:2], v5, off offset:480
	global_load_b32 v5, v[3:4], off offset:472
	s_wait_loadcnt 0x0
	global_store_b32 v[1:2], v5, off offset:476
	global_load_b32 v5, v[3:4], off offset:468
	s_wait_loadcnt 0x0
	global_store_b32 v[1:2], v5, off offset:472
	global_load_b32 v5, v[3:4], off offset:464
	s_wait_loadcnt 0x0
	global_store_b32 v[1:2], v5, off offset:468
	global_load_b32 v5, v[3:4], off offset:460
	s_wait_loadcnt 0x0
	global_store_b32 v[1:2], v5, off offset:464
	global_load_b32 v5, v[3:4], off offset:456
	s_wait_loadcnt 0x0
	global_store_b32 v[1:2], v5, off offset:460
	global_load_b32 v5, v[3:4], off offset:452
	s_wait_loadcnt 0x0
	global_store_b32 v[1:2], v5, off offset:456
	global_load_b32 v5, v[3:4], off offset:448
	s_wait_loadcnt 0x0
	global_store_b32 v[1:2], v5, off offset:452
	global_load_b32 v5, v[3:4], off offset:444
	s_wait_loadcnt 0x0
	global_store_b32 v[1:2], v5, off offset:448
	global_load_b32 v5, v[3:4], off offset:440
	s_wait_loadcnt 0x0
	global_store_b32 v[1:2], v5, off offset:444
	global_load_b32 v5, v[3:4], off offset:436
	s_wait_loadcnt 0x0
	global_store_b32 v[1:2], v5, off offset:440
	global_load_b32 v5, v[3:4], off offset:432
	s_wait_loadcnt 0x0
	global_store_b32 v[1:2], v5, off offset:436
	global_load_b32 v5, v[3:4], off offset:428
	s_wait_loadcnt 0x0
	global_store_b32 v[1:2], v5, off offset:432
	global_load_b32 v5, v[3:4], off offset:424
	s_wait_loadcnt 0x0
	global_store_b32 v[1:2], v5, off offset:428
	global_load_b32 v5, v[3:4], off offset:420
	s_wait_loadcnt 0x0
	global_store_b32 v[1:2], v5, off offset:424
	global_load_b32 v5, v[3:4], off offset:416
	s_wait_loadcnt 0x0
	global_store_b32 v[1:2], v5, off offset:420
	global_load_b32 v5, v[3:4], off offset:412
	s_wait_loadcnt 0x0
	global_store_b32 v[1:2], v5, off offset:416
	global_load_b32 v5, v[3:4], off offset:408
	s_wait_loadcnt 0x0
	global_store_b32 v[1:2], v5, off offset:412
	global_load_b32 v5, v[3:4], off offset:404
	s_wait_loadcnt 0x0
	global_store_b32 v[1:2], v5, off offset:408
	global_load_b32 v5, v[3:4], off offset:400
	s_wait_loadcnt 0x0
	global_store_b32 v[1:2], v5, off offset:404
	global_load_b32 v5, v[3:4], off offset:396
	s_wait_loadcnt 0x0
	global_store_b32 v[1:2], v5, off offset:400
	global_load_b32 v5, v[3:4], off offset:392
	s_wait_loadcnt 0x0
	global_store_b32 v[1:2], v5, off offset:396
	global_load_b32 v5, v[3:4], off offset:388
	s_wait_loadcnt 0x0
	global_store_b32 v[1:2], v5, off offset:392
	global_load_b32 v5, v[3:4], off offset:384
	s_wait_loadcnt 0x0
	global_store_b32 v[1:2], v5, off offset:388
	global_load_b32 v5, v[3:4], off offset:380
	s_wait_loadcnt 0x0
	global_store_b32 v[1:2], v5, off offset:384
	global_load_b32 v5, v[3:4], off offset:376
	s_wait_loadcnt 0x0
	global_store_b32 v[1:2], v5, off offset:380
	global_load_b32 v5, v[3:4], off offset:372
	s_wait_loadcnt 0x0
	global_store_b32 v[1:2], v5, off offset:376
	global_load_b32 v5, v[3:4], off offset:368
	s_wait_loadcnt 0x0
	global_store_b32 v[1:2], v5, off offset:372
	global_load_b32 v5, v[3:4], off offset:364
	s_wait_loadcnt 0x0
	global_store_b32 v[1:2], v5, off offset:368
	global_load_b32 v5, v[3:4], off offset:360
	s_wait_loadcnt 0x0
	global_store_b32 v[1:2], v5, off offset:364
	global_load_b32 v5, v[3:4], off offset:356
	s_wait_loadcnt 0x0
	global_store_b32 v[1:2], v5, off offset:360
	global_load_b32 v5, v[3:4], off offset:352
	s_wait_loadcnt 0x0
	global_store_b32 v[1:2], v5, off offset:356
	global_load_b32 v5, v[3:4], off offset:348
	s_wait_loadcnt 0x0
	global_store_b32 v[1:2], v5, off offset:352
	global_load_b32 v5, v[3:4], off offset:344
	s_wait_loadcnt 0x0
	global_store_b32 v[1:2], v5, off offset:348
	global_load_b32 v5, v[3:4], off offset:340
	s_wait_loadcnt 0x0
	global_store_b32 v[1:2], v5, off offset:344
	global_load_b32 v5, v[3:4], off offset:336
	s_wait_loadcnt 0x0
	global_store_b32 v[1:2], v5, off offset:340
	global_load_b32 v5, v[3:4], off offset:332
	s_wait_loadcnt 0x0
	global_store_b32 v[1:2], v5, off offset:336
	global_load_b32 v5, v[3:4], off offset:328
	s_wait_loadcnt 0x0
	global_store_b32 v[1:2], v5, off offset:332
	global_load_b32 v5, v[3:4], off offset:324
	s_wait_loadcnt 0x0
	global_store_b32 v[1:2], v5, off offset:328
	global_load_b32 v5, v[3:4], off offset:320
	s_wait_loadcnt 0x0
	global_store_b32 v[1:2], v5, off offset:324
	global_load_b32 v5, v[3:4], off offset:316
	s_wait_loadcnt 0x0
	global_store_b32 v[1:2], v5, off offset:320
	global_load_b32 v5, v[3:4], off offset:312
	s_wait_loadcnt 0x0
	global_store_b32 v[1:2], v5, off offset:316
	global_load_b32 v5, v[3:4], off offset:308
	s_wait_loadcnt 0x0
	global_store_b32 v[1:2], v5, off offset:312
	global_load_b32 v5, v[3:4], off offset:304
	s_wait_loadcnt 0x0
	global_store_b32 v[1:2], v5, off offset:308
	global_load_b32 v5, v[3:4], off offset:300
	s_wait_loadcnt 0x0
	global_store_b32 v[1:2], v5, off offset:304
	global_load_b32 v5, v[3:4], off offset:296
	s_wait_loadcnt 0x0
	global_store_b32 v[1:2], v5, off offset:300
	global_load_b32 v5, v[3:4], off offset:292
	s_wait_loadcnt 0x0
	global_store_b32 v[1:2], v5, off offset:296
	global_load_b32 v5, v[3:4], off offset:288
	s_wait_loadcnt 0x0
	global_store_b32 v[1:2], v5, off offset:292
	global_load_b32 v5, v[3:4], off offset:284
	s_wait_loadcnt 0x0
	global_store_b32 v[1:2], v5, off offset:288
	global_load_b32 v5, v[3:4], off offset:280
	s_wait_loadcnt 0x0
	global_store_b32 v[1:2], v5, off offset:284
	global_load_b32 v5, v[3:4], off offset:276
	s_wait_loadcnt 0x0
	global_store_b32 v[1:2], v5, off offset:280
	global_load_b32 v5, v[3:4], off offset:272
	s_wait_loadcnt 0x0
	global_store_b32 v[1:2], v5, off offset:276
	global_load_b32 v5, v[3:4], off offset:268
	s_wait_loadcnt 0x0
	global_store_b32 v[1:2], v5, off offset:272
	global_load_b32 v5, v[3:4], off offset:264
	s_wait_loadcnt 0x0
	global_store_b32 v[1:2], v5, off offset:268
	global_load_b32 v5, v[3:4], off offset:260
	s_wait_loadcnt 0x0
	global_store_b32 v[1:2], v5, off offset:264
	global_load_b32 v5, v[3:4], off offset:256
	s_wait_loadcnt 0x0
	global_store_b32 v[1:2], v5, off offset:260
	global_load_b32 v5, v[3:4], off offset:252
	s_wait_loadcnt 0x0
	global_store_b32 v[1:2], v5, off offset:256
	global_load_b32 v5, v[3:4], off offset:248
	s_wait_loadcnt 0x0
	global_store_b32 v[1:2], v5, off offset:252
	global_load_b32 v5, v[3:4], off offset:244
	s_wait_loadcnt 0x0
	global_store_b32 v[1:2], v5, off offset:248
	global_load_b32 v5, v[3:4], off offset:240
	s_wait_loadcnt 0x0
	global_store_b32 v[1:2], v5, off offset:244
	global_load_b32 v5, v[3:4], off offset:236
	s_wait_loadcnt 0x0
	global_store_b32 v[1:2], v5, off offset:240
	global_load_b32 v5, v[3:4], off offset:232
	s_wait_loadcnt 0x0
	global_store_b32 v[1:2], v5, off offset:236
	global_load_b32 v5, v[3:4], off offset:228
	s_wait_loadcnt 0x0
	global_store_b32 v[1:2], v5, off offset:232
	global_load_b32 v5, v[3:4], off offset:224
	s_wait_loadcnt 0x0
	global_store_b32 v[1:2], v5, off offset:228
	global_load_b32 v5, v[3:4], off offset:220
	s_wait_loadcnt 0x0
	global_store_b32 v[1:2], v5, off offset:224
	global_load_b32 v5, v[3:4], off offset:216
	s_wait_loadcnt 0x0
	global_store_b32 v[1:2], v5, off offset:220
	global_load_b32 v5, v[3:4], off offset:212
	s_wait_loadcnt 0x0
	global_store_b32 v[1:2], v5, off offset:216
	global_load_b32 v5, v[3:4], off offset:208
	s_wait_loadcnt 0x0
	global_store_b32 v[1:2], v5, off offset:212
	global_load_b32 v5, v[3:4], off offset:204
	s_wait_loadcnt 0x0
	global_store_b32 v[1:2], v5, off offset:208
	global_load_b32 v5, v[3:4], off offset:200
	s_wait_loadcnt 0x0
	global_store_b32 v[1:2], v5, off offset:204
	global_load_b32 v5, v[3:4], off offset:196
	s_wait_loadcnt 0x0
	global_store_b32 v[1:2], v5, off offset:200
	global_load_b32 v5, v[3:4], off offset:192
	s_wait_loadcnt 0x0
	global_store_b32 v[1:2], v5, off offset:196
	global_load_b32 v5, v[3:4], off offset:188
	s_wait_loadcnt 0x0
	global_store_b32 v[1:2], v5, off offset:192
	global_load_b32 v5, v[3:4], off offset:184
	s_wait_loadcnt 0x0
	global_store_b32 v[1:2], v5, off offset:188
	global_load_b32 v5, v[3:4], off offset:180
	s_wait_loadcnt 0x0
	global_store_b32 v[1:2], v5, off offset:184
	global_load_b32 v5, v[3:4], off offset:176
	s_wait_loadcnt 0x0
	global_store_b32 v[1:2], v5, off offset:180
	global_load_b32 v5, v[3:4], off offset:172
	s_wait_loadcnt 0x0
	global_store_b32 v[1:2], v5, off offset:176
	global_load_b32 v5, v[3:4], off offset:168
	s_wait_loadcnt 0x0
	global_store_b32 v[1:2], v5, off offset:172
	global_load_b32 v5, v[3:4], off offset:164
	s_wait_loadcnt 0x0
	global_store_b32 v[1:2], v5, off offset:168
	global_load_b32 v5, v[3:4], off offset:160
	s_wait_loadcnt 0x0
	global_store_b32 v[1:2], v5, off offset:164
	global_load_b32 v5, v[3:4], off offset:156
	s_wait_loadcnt 0x0
	global_store_b32 v[1:2], v5, off offset:160
	global_load_b32 v5, v[3:4], off offset:152
	s_wait_loadcnt 0x0
	global_store_b32 v[1:2], v5, off offset:156
	global_load_b32 v5, v[3:4], off offset:148
	s_wait_loadcnt 0x0
	global_store_b32 v[1:2], v5, off offset:152
	global_load_b32 v5, v[3:4], off offset:144
	s_wait_loadcnt 0x0
	global_store_b32 v[1:2], v5, off offset:148
	global_load_b32 v5, v[3:4], off offset:140
	s_wait_loadcnt 0x0
	global_store_b32 v[1:2], v5, off offset:144
	global_load_b32 v5, v[3:4], off offset:136
	s_wait_loadcnt 0x0
	global_store_b32 v[1:2], v5, off offset:140
	global_load_b32 v5, v[3:4], off offset:132
	s_wait_loadcnt 0x0
	global_store_b32 v[1:2], v5, off offset:136
	global_load_b32 v5, v[3:4], off offset:128
	s_wait_loadcnt 0x0
	global_store_b32 v[1:2], v5, off offset:132
	global_load_b32 v5, v[3:4], off offset:124
	s_wait_loadcnt 0x0
	global_store_b32 v[1:2], v5, off offset:128
	global_load_b32 v5, v[3:4], off offset:120
	s_wait_loadcnt 0x0
	global_store_b32 v[1:2], v5, off offset:124
	global_load_b32 v5, v[3:4], off offset:116
	s_wait_loadcnt 0x0
	global_store_b32 v[1:2], v5, off offset:120
	global_load_b32 v5, v[3:4], off offset:112
	s_wait_loadcnt 0x0
	global_store_b32 v[1:2], v5, off offset:116
	global_load_b32 v5, v[3:4], off offset:108
	s_wait_loadcnt 0x0
	global_store_b32 v[1:2], v5, off offset:112
	global_load_b32 v5, v[3:4], off offset:104
	s_wait_loadcnt 0x0
	global_store_b32 v[1:2], v5, off offset:108
	global_load_b32 v5, v[3:4], off offset:100
	s_wait_loadcnt 0x0
	global_store_b32 v[1:2], v5, off offset:104
	global_load_b32 v5, v[3:4], off offset:96
	s_wait_loadcnt 0x0
	global_store_b32 v[1:2], v5, off offset:100
	global_load_b32 v5, v[3:4], off offset:92
	s_wait_loadcnt 0x0
	global_store_b32 v[1:2], v5, off offset:96
	global_load_b32 v5, v[3:4], off offset:88
	s_wait_loadcnt 0x0
	global_store_b32 v[1:2], v5, off offset:92
	global_load_b32 v5, v[3:4], off offset:84
	s_wait_loadcnt 0x0
	global_store_b32 v[1:2], v5, off offset:88
	global_load_b32 v5, v[3:4], off offset:80
	s_wait_loadcnt 0x0
	global_store_b32 v[1:2], v5, off offset:84
	global_load_b32 v5, v[3:4], off offset:76
	s_wait_loadcnt 0x0
	global_store_b32 v[1:2], v5, off offset:80
	global_load_b32 v5, v[3:4], off offset:72
	s_wait_loadcnt 0x0
	global_store_b32 v[1:2], v5, off offset:76
	global_load_b32 v5, v[3:4], off offset:68
	s_wait_loadcnt 0x0
	global_store_b32 v[1:2], v5, off offset:72
	global_load_b32 v5, v[3:4], off offset:64
	s_wait_loadcnt 0x0
	global_store_b32 v[1:2], v5, off offset:68
	global_load_b32 v5, v[3:4], off offset:60
	s_wait_loadcnt 0x0
	global_store_b32 v[1:2], v5, off offset:64
	global_load_b32 v5, v[3:4], off offset:56
	s_wait_loadcnt 0x0
	global_store_b32 v[1:2], v5, off offset:60
	global_load_b32 v5, v[3:4], off offset:52
	s_wait_loadcnt 0x0
	global_store_b32 v[1:2], v5, off offset:56
	global_load_b32 v5, v[3:4], off offset:48
	s_wait_loadcnt 0x0
	global_store_b32 v[1:2], v5, off offset:52
	global_load_b32 v5, v[3:4], off offset:44
	s_wait_loadcnt 0x0
	global_store_b32 v[1:2], v5, off offset:48
	global_load_b32 v5, v[3:4], off offset:40
	s_wait_loadcnt 0x0
	global_store_b32 v[1:2], v5, off offset:44
	global_load_b32 v5, v[3:4], off offset:36
	s_wait_loadcnt 0x0
	global_store_b32 v[1:2], v5, off offset:40
	global_load_b32 v5, v[3:4], off offset:32
	s_wait_loadcnt 0x0
	global_store_b32 v[1:2], v5, off offset:36
	global_load_b32 v5, v[3:4], off offset:28
	s_wait_loadcnt 0x0
	global_store_b32 v[1:2], v5, off offset:32
	global_load_b32 v5, v[3:4], off offset:24
	s_wait_loadcnt 0x0
	global_store_b32 v[1:2], v5, off offset:28
	global_load_b32 v5, v[3:4], off offset:20
	s_wait_loadcnt 0x0
	global_store_b32 v[1:2], v5, off offset:24
	global_load_b32 v5, v[3:4], off offset:16
	s_wait_loadcnt 0x0
	global_store_b32 v[1:2], v5, off offset:20
	global_load_b32 v5, v[3:4], off offset:12
	s_wait_loadcnt 0x0
	global_store_b32 v[1:2], v5, off offset:16
	global_load_b32 v5, v[3:4], off offset:8
	s_wait_loadcnt 0x0
	global_store_b32 v[1:2], v5, off offset:12
	global_load_b32 v5, v[3:4], off offset:4
	s_wait_loadcnt 0x0
	global_store_b32 v[1:2], v5, off offset:8
	global_load_b32 v4, v[3:4], off
	v_lshlrev_b32_e32 v3, 2, v0
	ds_store_b32 v3, v6
	s_wait_loadcnt 0x0
	global_store_b32 v[1:2], v4, off offset:4
	s_wait_storecnt_dscnt 0x0
	s_barrier_signal -1
	s_barrier_wait -1
	global_inv scope:SCOPE_SE
	v_cmpx_ne_u32_e32 0, v0
	s_cbranch_execz .LBB44_2
; %bb.1:
	v_add_nc_u32_e32 v0, -4, v3
	ds_load_b32 v0, v0
	s_wait_dscnt 0x0
	global_store_b32 v[1:2], v0, off
.LBB44_2:
	s_endpgm
	.section	.rodata,"a",@progbits
	.p2align	6, 0x0
	.amdhsa_kernel _Z17shuffle_up_kernelILj162ELj128EiEvPT1_S1_
		.amdhsa_group_segment_fixed_size 648
		.amdhsa_private_segment_fixed_size 0
		.amdhsa_kernarg_size 16
		.amdhsa_user_sgpr_count 2
		.amdhsa_user_sgpr_dispatch_ptr 0
		.amdhsa_user_sgpr_queue_ptr 0
		.amdhsa_user_sgpr_kernarg_segment_ptr 1
		.amdhsa_user_sgpr_dispatch_id 0
		.amdhsa_user_sgpr_private_segment_size 0
		.amdhsa_wavefront_size32 1
		.amdhsa_uses_dynamic_stack 0
		.amdhsa_enable_private_segment 0
		.amdhsa_system_sgpr_workgroup_id_x 1
		.amdhsa_system_sgpr_workgroup_id_y 0
		.amdhsa_system_sgpr_workgroup_id_z 0
		.amdhsa_system_sgpr_workgroup_info 0
		.amdhsa_system_vgpr_workitem_id 0
		.amdhsa_next_free_vgpr 7
		.amdhsa_next_free_sgpr 5
		.amdhsa_reserve_vcc 1
		.amdhsa_float_round_mode_32 0
		.amdhsa_float_round_mode_16_64 0
		.amdhsa_float_denorm_mode_32 3
		.amdhsa_float_denorm_mode_16_64 3
		.amdhsa_fp16_overflow 0
		.amdhsa_workgroup_processor_mode 1
		.amdhsa_memory_ordered 1
		.amdhsa_forward_progress 1
		.amdhsa_inst_pref_size 30
		.amdhsa_round_robin_scheduling 0
		.amdhsa_exception_fp_ieee_invalid_op 0
		.amdhsa_exception_fp_denorm_src 0
		.amdhsa_exception_fp_ieee_div_zero 0
		.amdhsa_exception_fp_ieee_overflow 0
		.amdhsa_exception_fp_ieee_underflow 0
		.amdhsa_exception_fp_ieee_inexact 0
		.amdhsa_exception_int_div_zero 0
	.end_amdhsa_kernel
	.section	.text._Z17shuffle_up_kernelILj162ELj128EiEvPT1_S1_,"axG",@progbits,_Z17shuffle_up_kernelILj162ELj128EiEvPT1_S1_,comdat
.Lfunc_end44:
	.size	_Z17shuffle_up_kernelILj162ELj128EiEvPT1_S1_, .Lfunc_end44-_Z17shuffle_up_kernelILj162ELj128EiEvPT1_S1_
                                        ; -- End function
	.set _Z17shuffle_up_kernelILj162ELj128EiEvPT1_S1_.num_vgpr, 7
	.set _Z17shuffle_up_kernelILj162ELj128EiEvPT1_S1_.num_agpr, 0
	.set _Z17shuffle_up_kernelILj162ELj128EiEvPT1_S1_.numbered_sgpr, 5
	.set _Z17shuffle_up_kernelILj162ELj128EiEvPT1_S1_.num_named_barrier, 0
	.set _Z17shuffle_up_kernelILj162ELj128EiEvPT1_S1_.private_seg_size, 0
	.set _Z17shuffle_up_kernelILj162ELj128EiEvPT1_S1_.uses_vcc, 1
	.set _Z17shuffle_up_kernelILj162ELj128EiEvPT1_S1_.uses_flat_scratch, 0
	.set _Z17shuffle_up_kernelILj162ELj128EiEvPT1_S1_.has_dyn_sized_stack, 0
	.set _Z17shuffle_up_kernelILj162ELj128EiEvPT1_S1_.has_recursion, 0
	.set _Z17shuffle_up_kernelILj162ELj128EiEvPT1_S1_.has_indirect_call, 0
	.section	.AMDGPU.csdata,"",@progbits
; Kernel info:
; codeLenInByte = 3716
; TotalNumSgprs: 7
; NumVgprs: 7
; ScratchSize: 0
; MemoryBound: 1
; FloatMode: 240
; IeeeMode: 1
; LDSByteSize: 648 bytes/workgroup (compile time only)
; SGPRBlocks: 0
; VGPRBlocks: 0
; NumSGPRsForWavesPerEU: 7
; NumVGPRsForWavesPerEU: 7
; Occupancy: 16
; WaveLimiterHint : 1
; COMPUTE_PGM_RSRC2:SCRATCH_EN: 0
; COMPUTE_PGM_RSRC2:USER_SGPR: 2
; COMPUTE_PGM_RSRC2:TRAP_HANDLER: 0
; COMPUTE_PGM_RSRC2:TGID_X_EN: 1
; COMPUTE_PGM_RSRC2:TGID_Y_EN: 0
; COMPUTE_PGM_RSRC2:TGID_Z_EN: 0
; COMPUTE_PGM_RSRC2:TIDIG_COMP_CNT: 0
	.section	.text._Z17shuffle_up_kernelILj37ELj128EiEvPT1_S1_,"axG",@progbits,_Z17shuffle_up_kernelILj37ELj128EiEvPT1_S1_,comdat
	.protected	_Z17shuffle_up_kernelILj37ELj128EiEvPT1_S1_ ; -- Begin function _Z17shuffle_up_kernelILj37ELj128EiEvPT1_S1_
	.globl	_Z17shuffle_up_kernelILj37ELj128EiEvPT1_S1_
	.p2align	8
	.type	_Z17shuffle_up_kernelILj37ELj128EiEvPT1_S1_,@function
_Z17shuffle_up_kernelILj37ELj128EiEvPT1_S1_: ; @_Z17shuffle_up_kernelILj37ELj128EiEvPT1_S1_
; %bb.0:
	s_load_b128 s[0:3], s[0:1], 0x0
	s_mul_i32 s4, ttmp9, 37
	v_mov_b32_e32 v2, 0
	v_add_lshl_u32 v1, s4, v0, 7
	s_delay_alu instid0(VALU_DEP_1) | instskip(SKIP_1) | instid1(VALU_DEP_1)
	v_lshlrev_b64_e32 v[1:2], 2, v[1:2]
	s_wait_kmcnt 0x0
	v_add_co_u32 v3, vcc_lo, s0, v1
	s_delay_alu instid0(VALU_DEP_1)
	v_add_co_ci_u32_e64 v4, null, s1, v2, vcc_lo
	v_add_co_u32 v1, vcc_lo, s2, v1
	s_wait_alu 0xfffd
	v_add_co_ci_u32_e64 v2, null, s3, v2, vcc_lo
	global_load_b64 v[5:6], v[3:4], off offset:504
	s_mov_b32 s0, exec_lo
	s_wait_loadcnt 0x0
	global_store_b32 v[1:2], v5, off offset:508
	global_load_b32 v5, v[3:4], off offset:500
	s_wait_loadcnt 0x0
	global_store_b32 v[1:2], v5, off offset:504
	global_load_b32 v5, v[3:4], off offset:496
	s_wait_loadcnt 0x0
	global_store_b32 v[1:2], v5, off offset:500
	global_load_b32 v5, v[3:4], off offset:492
	s_wait_loadcnt 0x0
	global_store_b32 v[1:2], v5, off offset:496
	global_load_b32 v5, v[3:4], off offset:488
	s_wait_loadcnt 0x0
	global_store_b32 v[1:2], v5, off offset:492
	global_load_b32 v5, v[3:4], off offset:484
	s_wait_loadcnt 0x0
	global_store_b32 v[1:2], v5, off offset:488
	global_load_b32 v5, v[3:4], off offset:480
	s_wait_loadcnt 0x0
	global_store_b32 v[1:2], v5, off offset:484
	global_load_b32 v5, v[3:4], off offset:476
	s_wait_loadcnt 0x0
	global_store_b32 v[1:2], v5, off offset:480
	global_load_b32 v5, v[3:4], off offset:472
	s_wait_loadcnt 0x0
	global_store_b32 v[1:2], v5, off offset:476
	global_load_b32 v5, v[3:4], off offset:468
	s_wait_loadcnt 0x0
	global_store_b32 v[1:2], v5, off offset:472
	global_load_b32 v5, v[3:4], off offset:464
	s_wait_loadcnt 0x0
	global_store_b32 v[1:2], v5, off offset:468
	global_load_b32 v5, v[3:4], off offset:460
	s_wait_loadcnt 0x0
	global_store_b32 v[1:2], v5, off offset:464
	global_load_b32 v5, v[3:4], off offset:456
	s_wait_loadcnt 0x0
	global_store_b32 v[1:2], v5, off offset:460
	global_load_b32 v5, v[3:4], off offset:452
	s_wait_loadcnt 0x0
	global_store_b32 v[1:2], v5, off offset:456
	global_load_b32 v5, v[3:4], off offset:448
	s_wait_loadcnt 0x0
	global_store_b32 v[1:2], v5, off offset:452
	global_load_b32 v5, v[3:4], off offset:444
	s_wait_loadcnt 0x0
	global_store_b32 v[1:2], v5, off offset:448
	global_load_b32 v5, v[3:4], off offset:440
	s_wait_loadcnt 0x0
	global_store_b32 v[1:2], v5, off offset:444
	global_load_b32 v5, v[3:4], off offset:436
	s_wait_loadcnt 0x0
	global_store_b32 v[1:2], v5, off offset:440
	global_load_b32 v5, v[3:4], off offset:432
	s_wait_loadcnt 0x0
	global_store_b32 v[1:2], v5, off offset:436
	global_load_b32 v5, v[3:4], off offset:428
	s_wait_loadcnt 0x0
	global_store_b32 v[1:2], v5, off offset:432
	global_load_b32 v5, v[3:4], off offset:424
	s_wait_loadcnt 0x0
	global_store_b32 v[1:2], v5, off offset:428
	global_load_b32 v5, v[3:4], off offset:420
	s_wait_loadcnt 0x0
	global_store_b32 v[1:2], v5, off offset:424
	global_load_b32 v5, v[3:4], off offset:416
	s_wait_loadcnt 0x0
	global_store_b32 v[1:2], v5, off offset:420
	global_load_b32 v5, v[3:4], off offset:412
	s_wait_loadcnt 0x0
	global_store_b32 v[1:2], v5, off offset:416
	global_load_b32 v5, v[3:4], off offset:408
	s_wait_loadcnt 0x0
	global_store_b32 v[1:2], v5, off offset:412
	global_load_b32 v5, v[3:4], off offset:404
	s_wait_loadcnt 0x0
	global_store_b32 v[1:2], v5, off offset:408
	global_load_b32 v5, v[3:4], off offset:400
	s_wait_loadcnt 0x0
	global_store_b32 v[1:2], v5, off offset:404
	global_load_b32 v5, v[3:4], off offset:396
	s_wait_loadcnt 0x0
	global_store_b32 v[1:2], v5, off offset:400
	global_load_b32 v5, v[3:4], off offset:392
	s_wait_loadcnt 0x0
	global_store_b32 v[1:2], v5, off offset:396
	global_load_b32 v5, v[3:4], off offset:388
	s_wait_loadcnt 0x0
	global_store_b32 v[1:2], v5, off offset:392
	global_load_b32 v5, v[3:4], off offset:384
	s_wait_loadcnt 0x0
	global_store_b32 v[1:2], v5, off offset:388
	global_load_b32 v5, v[3:4], off offset:380
	s_wait_loadcnt 0x0
	global_store_b32 v[1:2], v5, off offset:384
	global_load_b32 v5, v[3:4], off offset:376
	s_wait_loadcnt 0x0
	global_store_b32 v[1:2], v5, off offset:380
	global_load_b32 v5, v[3:4], off offset:372
	s_wait_loadcnt 0x0
	global_store_b32 v[1:2], v5, off offset:376
	global_load_b32 v5, v[3:4], off offset:368
	s_wait_loadcnt 0x0
	global_store_b32 v[1:2], v5, off offset:372
	global_load_b32 v5, v[3:4], off offset:364
	s_wait_loadcnt 0x0
	global_store_b32 v[1:2], v5, off offset:368
	global_load_b32 v5, v[3:4], off offset:360
	s_wait_loadcnt 0x0
	global_store_b32 v[1:2], v5, off offset:364
	global_load_b32 v5, v[3:4], off offset:356
	s_wait_loadcnt 0x0
	global_store_b32 v[1:2], v5, off offset:360
	global_load_b32 v5, v[3:4], off offset:352
	s_wait_loadcnt 0x0
	global_store_b32 v[1:2], v5, off offset:356
	global_load_b32 v5, v[3:4], off offset:348
	s_wait_loadcnt 0x0
	global_store_b32 v[1:2], v5, off offset:352
	global_load_b32 v5, v[3:4], off offset:344
	s_wait_loadcnt 0x0
	global_store_b32 v[1:2], v5, off offset:348
	global_load_b32 v5, v[3:4], off offset:340
	s_wait_loadcnt 0x0
	global_store_b32 v[1:2], v5, off offset:344
	global_load_b32 v5, v[3:4], off offset:336
	s_wait_loadcnt 0x0
	global_store_b32 v[1:2], v5, off offset:340
	global_load_b32 v5, v[3:4], off offset:332
	s_wait_loadcnt 0x0
	global_store_b32 v[1:2], v5, off offset:336
	global_load_b32 v5, v[3:4], off offset:328
	s_wait_loadcnt 0x0
	global_store_b32 v[1:2], v5, off offset:332
	global_load_b32 v5, v[3:4], off offset:324
	s_wait_loadcnt 0x0
	global_store_b32 v[1:2], v5, off offset:328
	global_load_b32 v5, v[3:4], off offset:320
	s_wait_loadcnt 0x0
	global_store_b32 v[1:2], v5, off offset:324
	global_load_b32 v5, v[3:4], off offset:316
	s_wait_loadcnt 0x0
	global_store_b32 v[1:2], v5, off offset:320
	global_load_b32 v5, v[3:4], off offset:312
	s_wait_loadcnt 0x0
	global_store_b32 v[1:2], v5, off offset:316
	global_load_b32 v5, v[3:4], off offset:308
	s_wait_loadcnt 0x0
	global_store_b32 v[1:2], v5, off offset:312
	global_load_b32 v5, v[3:4], off offset:304
	s_wait_loadcnt 0x0
	global_store_b32 v[1:2], v5, off offset:308
	global_load_b32 v5, v[3:4], off offset:300
	s_wait_loadcnt 0x0
	global_store_b32 v[1:2], v5, off offset:304
	global_load_b32 v5, v[3:4], off offset:296
	s_wait_loadcnt 0x0
	global_store_b32 v[1:2], v5, off offset:300
	global_load_b32 v5, v[3:4], off offset:292
	s_wait_loadcnt 0x0
	global_store_b32 v[1:2], v5, off offset:296
	global_load_b32 v5, v[3:4], off offset:288
	s_wait_loadcnt 0x0
	global_store_b32 v[1:2], v5, off offset:292
	global_load_b32 v5, v[3:4], off offset:284
	s_wait_loadcnt 0x0
	global_store_b32 v[1:2], v5, off offset:288
	global_load_b32 v5, v[3:4], off offset:280
	s_wait_loadcnt 0x0
	global_store_b32 v[1:2], v5, off offset:284
	global_load_b32 v5, v[3:4], off offset:276
	s_wait_loadcnt 0x0
	global_store_b32 v[1:2], v5, off offset:280
	global_load_b32 v5, v[3:4], off offset:272
	s_wait_loadcnt 0x0
	global_store_b32 v[1:2], v5, off offset:276
	global_load_b32 v5, v[3:4], off offset:268
	s_wait_loadcnt 0x0
	global_store_b32 v[1:2], v5, off offset:272
	global_load_b32 v5, v[3:4], off offset:264
	s_wait_loadcnt 0x0
	global_store_b32 v[1:2], v5, off offset:268
	global_load_b32 v5, v[3:4], off offset:260
	s_wait_loadcnt 0x0
	global_store_b32 v[1:2], v5, off offset:264
	global_load_b32 v5, v[3:4], off offset:256
	s_wait_loadcnt 0x0
	global_store_b32 v[1:2], v5, off offset:260
	global_load_b32 v5, v[3:4], off offset:252
	s_wait_loadcnt 0x0
	global_store_b32 v[1:2], v5, off offset:256
	global_load_b32 v5, v[3:4], off offset:248
	s_wait_loadcnt 0x0
	global_store_b32 v[1:2], v5, off offset:252
	global_load_b32 v5, v[3:4], off offset:244
	s_wait_loadcnt 0x0
	global_store_b32 v[1:2], v5, off offset:248
	global_load_b32 v5, v[3:4], off offset:240
	s_wait_loadcnt 0x0
	global_store_b32 v[1:2], v5, off offset:244
	global_load_b32 v5, v[3:4], off offset:236
	s_wait_loadcnt 0x0
	global_store_b32 v[1:2], v5, off offset:240
	global_load_b32 v5, v[3:4], off offset:232
	s_wait_loadcnt 0x0
	global_store_b32 v[1:2], v5, off offset:236
	global_load_b32 v5, v[3:4], off offset:228
	s_wait_loadcnt 0x0
	global_store_b32 v[1:2], v5, off offset:232
	global_load_b32 v5, v[3:4], off offset:224
	s_wait_loadcnt 0x0
	global_store_b32 v[1:2], v5, off offset:228
	global_load_b32 v5, v[3:4], off offset:220
	s_wait_loadcnt 0x0
	global_store_b32 v[1:2], v5, off offset:224
	global_load_b32 v5, v[3:4], off offset:216
	s_wait_loadcnt 0x0
	global_store_b32 v[1:2], v5, off offset:220
	global_load_b32 v5, v[3:4], off offset:212
	s_wait_loadcnt 0x0
	global_store_b32 v[1:2], v5, off offset:216
	global_load_b32 v5, v[3:4], off offset:208
	s_wait_loadcnt 0x0
	global_store_b32 v[1:2], v5, off offset:212
	global_load_b32 v5, v[3:4], off offset:204
	s_wait_loadcnt 0x0
	global_store_b32 v[1:2], v5, off offset:208
	global_load_b32 v5, v[3:4], off offset:200
	s_wait_loadcnt 0x0
	global_store_b32 v[1:2], v5, off offset:204
	global_load_b32 v5, v[3:4], off offset:196
	s_wait_loadcnt 0x0
	global_store_b32 v[1:2], v5, off offset:200
	global_load_b32 v5, v[3:4], off offset:192
	s_wait_loadcnt 0x0
	global_store_b32 v[1:2], v5, off offset:196
	global_load_b32 v5, v[3:4], off offset:188
	s_wait_loadcnt 0x0
	global_store_b32 v[1:2], v5, off offset:192
	global_load_b32 v5, v[3:4], off offset:184
	s_wait_loadcnt 0x0
	global_store_b32 v[1:2], v5, off offset:188
	global_load_b32 v5, v[3:4], off offset:180
	s_wait_loadcnt 0x0
	global_store_b32 v[1:2], v5, off offset:184
	global_load_b32 v5, v[3:4], off offset:176
	s_wait_loadcnt 0x0
	global_store_b32 v[1:2], v5, off offset:180
	global_load_b32 v5, v[3:4], off offset:172
	s_wait_loadcnt 0x0
	global_store_b32 v[1:2], v5, off offset:176
	global_load_b32 v5, v[3:4], off offset:168
	s_wait_loadcnt 0x0
	global_store_b32 v[1:2], v5, off offset:172
	global_load_b32 v5, v[3:4], off offset:164
	s_wait_loadcnt 0x0
	global_store_b32 v[1:2], v5, off offset:168
	global_load_b32 v5, v[3:4], off offset:160
	s_wait_loadcnt 0x0
	global_store_b32 v[1:2], v5, off offset:164
	global_load_b32 v5, v[3:4], off offset:156
	s_wait_loadcnt 0x0
	global_store_b32 v[1:2], v5, off offset:160
	global_load_b32 v5, v[3:4], off offset:152
	s_wait_loadcnt 0x0
	global_store_b32 v[1:2], v5, off offset:156
	global_load_b32 v5, v[3:4], off offset:148
	s_wait_loadcnt 0x0
	global_store_b32 v[1:2], v5, off offset:152
	global_load_b32 v5, v[3:4], off offset:144
	s_wait_loadcnt 0x0
	global_store_b32 v[1:2], v5, off offset:148
	global_load_b32 v5, v[3:4], off offset:140
	s_wait_loadcnt 0x0
	global_store_b32 v[1:2], v5, off offset:144
	global_load_b32 v5, v[3:4], off offset:136
	s_wait_loadcnt 0x0
	global_store_b32 v[1:2], v5, off offset:140
	global_load_b32 v5, v[3:4], off offset:132
	s_wait_loadcnt 0x0
	global_store_b32 v[1:2], v5, off offset:136
	global_load_b32 v5, v[3:4], off offset:128
	s_wait_loadcnt 0x0
	global_store_b32 v[1:2], v5, off offset:132
	global_load_b32 v5, v[3:4], off offset:124
	s_wait_loadcnt 0x0
	global_store_b32 v[1:2], v5, off offset:128
	global_load_b32 v5, v[3:4], off offset:120
	s_wait_loadcnt 0x0
	global_store_b32 v[1:2], v5, off offset:124
	global_load_b32 v5, v[3:4], off offset:116
	s_wait_loadcnt 0x0
	global_store_b32 v[1:2], v5, off offset:120
	global_load_b32 v5, v[3:4], off offset:112
	s_wait_loadcnt 0x0
	global_store_b32 v[1:2], v5, off offset:116
	global_load_b32 v5, v[3:4], off offset:108
	s_wait_loadcnt 0x0
	global_store_b32 v[1:2], v5, off offset:112
	global_load_b32 v5, v[3:4], off offset:104
	s_wait_loadcnt 0x0
	global_store_b32 v[1:2], v5, off offset:108
	global_load_b32 v5, v[3:4], off offset:100
	s_wait_loadcnt 0x0
	global_store_b32 v[1:2], v5, off offset:104
	global_load_b32 v5, v[3:4], off offset:96
	s_wait_loadcnt 0x0
	global_store_b32 v[1:2], v5, off offset:100
	global_load_b32 v5, v[3:4], off offset:92
	s_wait_loadcnt 0x0
	global_store_b32 v[1:2], v5, off offset:96
	global_load_b32 v5, v[3:4], off offset:88
	s_wait_loadcnt 0x0
	global_store_b32 v[1:2], v5, off offset:92
	global_load_b32 v5, v[3:4], off offset:84
	s_wait_loadcnt 0x0
	global_store_b32 v[1:2], v5, off offset:88
	global_load_b32 v5, v[3:4], off offset:80
	s_wait_loadcnt 0x0
	global_store_b32 v[1:2], v5, off offset:84
	global_load_b32 v5, v[3:4], off offset:76
	s_wait_loadcnt 0x0
	global_store_b32 v[1:2], v5, off offset:80
	global_load_b32 v5, v[3:4], off offset:72
	s_wait_loadcnt 0x0
	global_store_b32 v[1:2], v5, off offset:76
	global_load_b32 v5, v[3:4], off offset:68
	s_wait_loadcnt 0x0
	global_store_b32 v[1:2], v5, off offset:72
	global_load_b32 v5, v[3:4], off offset:64
	s_wait_loadcnt 0x0
	global_store_b32 v[1:2], v5, off offset:68
	global_load_b32 v5, v[3:4], off offset:60
	s_wait_loadcnt 0x0
	global_store_b32 v[1:2], v5, off offset:64
	global_load_b32 v5, v[3:4], off offset:56
	s_wait_loadcnt 0x0
	global_store_b32 v[1:2], v5, off offset:60
	global_load_b32 v5, v[3:4], off offset:52
	s_wait_loadcnt 0x0
	global_store_b32 v[1:2], v5, off offset:56
	global_load_b32 v5, v[3:4], off offset:48
	s_wait_loadcnt 0x0
	global_store_b32 v[1:2], v5, off offset:52
	global_load_b32 v5, v[3:4], off offset:44
	s_wait_loadcnt 0x0
	global_store_b32 v[1:2], v5, off offset:48
	global_load_b32 v5, v[3:4], off offset:40
	s_wait_loadcnt 0x0
	global_store_b32 v[1:2], v5, off offset:44
	global_load_b32 v5, v[3:4], off offset:36
	s_wait_loadcnt 0x0
	global_store_b32 v[1:2], v5, off offset:40
	global_load_b32 v5, v[3:4], off offset:32
	s_wait_loadcnt 0x0
	global_store_b32 v[1:2], v5, off offset:36
	global_load_b32 v5, v[3:4], off offset:28
	s_wait_loadcnt 0x0
	global_store_b32 v[1:2], v5, off offset:32
	global_load_b32 v5, v[3:4], off offset:24
	s_wait_loadcnt 0x0
	global_store_b32 v[1:2], v5, off offset:28
	global_load_b32 v5, v[3:4], off offset:20
	s_wait_loadcnt 0x0
	global_store_b32 v[1:2], v5, off offset:24
	global_load_b32 v5, v[3:4], off offset:16
	s_wait_loadcnt 0x0
	global_store_b32 v[1:2], v5, off offset:20
	global_load_b32 v5, v[3:4], off offset:12
	s_wait_loadcnt 0x0
	global_store_b32 v[1:2], v5, off offset:16
	global_load_b32 v5, v[3:4], off offset:8
	s_wait_loadcnt 0x0
	global_store_b32 v[1:2], v5, off offset:12
	global_load_b32 v5, v[3:4], off offset:4
	s_wait_loadcnt 0x0
	global_store_b32 v[1:2], v5, off offset:8
	global_load_b32 v4, v[3:4], off
	v_lshlrev_b32_e32 v3, 2, v0
	ds_store_b32 v3, v6
	s_wait_loadcnt 0x0
	global_store_b32 v[1:2], v4, off offset:4
	s_wait_storecnt_dscnt 0x0
	s_barrier_signal -1
	s_barrier_wait -1
	global_inv scope:SCOPE_SE
	v_cmpx_ne_u32_e32 0, v0
	s_cbranch_execz .LBB45_2
; %bb.1:
	v_add_nc_u32_e32 v0, -4, v3
	ds_load_b32 v0, v0
	s_wait_dscnt 0x0
	global_store_b32 v[1:2], v0, off
.LBB45_2:
	s_endpgm
	.section	.rodata,"a",@progbits
	.p2align	6, 0x0
	.amdhsa_kernel _Z17shuffle_up_kernelILj37ELj128EiEvPT1_S1_
		.amdhsa_group_segment_fixed_size 148
		.amdhsa_private_segment_fixed_size 0
		.amdhsa_kernarg_size 16
		.amdhsa_user_sgpr_count 2
		.amdhsa_user_sgpr_dispatch_ptr 0
		.amdhsa_user_sgpr_queue_ptr 0
		.amdhsa_user_sgpr_kernarg_segment_ptr 1
		.amdhsa_user_sgpr_dispatch_id 0
		.amdhsa_user_sgpr_private_segment_size 0
		.amdhsa_wavefront_size32 1
		.amdhsa_uses_dynamic_stack 0
		.amdhsa_enable_private_segment 0
		.amdhsa_system_sgpr_workgroup_id_x 1
		.amdhsa_system_sgpr_workgroup_id_y 0
		.amdhsa_system_sgpr_workgroup_id_z 0
		.amdhsa_system_sgpr_workgroup_info 0
		.amdhsa_system_vgpr_workitem_id 0
		.amdhsa_next_free_vgpr 7
		.amdhsa_next_free_sgpr 5
		.amdhsa_reserve_vcc 1
		.amdhsa_float_round_mode_32 0
		.amdhsa_float_round_mode_16_64 0
		.amdhsa_float_denorm_mode_32 3
		.amdhsa_float_denorm_mode_16_64 3
		.amdhsa_fp16_overflow 0
		.amdhsa_workgroup_processor_mode 1
		.amdhsa_memory_ordered 1
		.amdhsa_forward_progress 1
		.amdhsa_inst_pref_size 29
		.amdhsa_round_robin_scheduling 0
		.amdhsa_exception_fp_ieee_invalid_op 0
		.amdhsa_exception_fp_denorm_src 0
		.amdhsa_exception_fp_ieee_div_zero 0
		.amdhsa_exception_fp_ieee_overflow 0
		.amdhsa_exception_fp_ieee_underflow 0
		.amdhsa_exception_fp_ieee_inexact 0
		.amdhsa_exception_int_div_zero 0
	.end_amdhsa_kernel
	.section	.text._Z17shuffle_up_kernelILj37ELj128EiEvPT1_S1_,"axG",@progbits,_Z17shuffle_up_kernelILj37ELj128EiEvPT1_S1_,comdat
.Lfunc_end45:
	.size	_Z17shuffle_up_kernelILj37ELj128EiEvPT1_S1_, .Lfunc_end45-_Z17shuffle_up_kernelILj37ELj128EiEvPT1_S1_
                                        ; -- End function
	.set _Z17shuffle_up_kernelILj37ELj128EiEvPT1_S1_.num_vgpr, 7
	.set _Z17shuffle_up_kernelILj37ELj128EiEvPT1_S1_.num_agpr, 0
	.set _Z17shuffle_up_kernelILj37ELj128EiEvPT1_S1_.numbered_sgpr, 5
	.set _Z17shuffle_up_kernelILj37ELj128EiEvPT1_S1_.num_named_barrier, 0
	.set _Z17shuffle_up_kernelILj37ELj128EiEvPT1_S1_.private_seg_size, 0
	.set _Z17shuffle_up_kernelILj37ELj128EiEvPT1_S1_.uses_vcc, 1
	.set _Z17shuffle_up_kernelILj37ELj128EiEvPT1_S1_.uses_flat_scratch, 0
	.set _Z17shuffle_up_kernelILj37ELj128EiEvPT1_S1_.has_dyn_sized_stack, 0
	.set _Z17shuffle_up_kernelILj37ELj128EiEvPT1_S1_.has_recursion, 0
	.set _Z17shuffle_up_kernelILj37ELj128EiEvPT1_S1_.has_indirect_call, 0
	.section	.AMDGPU.csdata,"",@progbits
; Kernel info:
; codeLenInByte = 3712
; TotalNumSgprs: 7
; NumVgprs: 7
; ScratchSize: 0
; MemoryBound: 1
; FloatMode: 240
; IeeeMode: 1
; LDSByteSize: 148 bytes/workgroup (compile time only)
; SGPRBlocks: 0
; VGPRBlocks: 0
; NumSGPRsForWavesPerEU: 7
; NumVGPRsForWavesPerEU: 7
; Occupancy: 16
; WaveLimiterHint : 1
; COMPUTE_PGM_RSRC2:SCRATCH_EN: 0
; COMPUTE_PGM_RSRC2:USER_SGPR: 2
; COMPUTE_PGM_RSRC2:TRAP_HANDLER: 0
; COMPUTE_PGM_RSRC2:TGID_X_EN: 1
; COMPUTE_PGM_RSRC2:TGID_Y_EN: 0
; COMPUTE_PGM_RSRC2:TGID_Z_EN: 0
; COMPUTE_PGM_RSRC2:TIDIG_COMP_CNT: 0
	.section	.text._Z17shuffle_up_kernelILj65ELj128EiEvPT1_S1_,"axG",@progbits,_Z17shuffle_up_kernelILj65ELj128EiEvPT1_S1_,comdat
	.protected	_Z17shuffle_up_kernelILj65ELj128EiEvPT1_S1_ ; -- Begin function _Z17shuffle_up_kernelILj65ELj128EiEvPT1_S1_
	.globl	_Z17shuffle_up_kernelILj65ELj128EiEvPT1_S1_
	.p2align	8
	.type	_Z17shuffle_up_kernelILj65ELj128EiEvPT1_S1_,@function
_Z17shuffle_up_kernelILj65ELj128EiEvPT1_S1_: ; @_Z17shuffle_up_kernelILj65ELj128EiEvPT1_S1_
; %bb.0:
	s_load_b128 s[0:3], s[0:1], 0x0
	s_mul_i32 s4, ttmp9, 0x41
	v_mov_b32_e32 v2, 0
	v_add_lshl_u32 v1, s4, v0, 7
	s_delay_alu instid0(VALU_DEP_1) | instskip(SKIP_1) | instid1(VALU_DEP_1)
	v_lshlrev_b64_e32 v[1:2], 2, v[1:2]
	s_wait_kmcnt 0x0
	v_add_co_u32 v3, vcc_lo, s0, v1
	s_delay_alu instid0(VALU_DEP_1)
	v_add_co_ci_u32_e64 v4, null, s1, v2, vcc_lo
	v_add_co_u32 v1, vcc_lo, s2, v1
	s_wait_alu 0xfffd
	v_add_co_ci_u32_e64 v2, null, s3, v2, vcc_lo
	global_load_b64 v[5:6], v[3:4], off offset:504
	s_mov_b32 s0, exec_lo
	s_wait_loadcnt 0x0
	global_store_b32 v[1:2], v5, off offset:508
	global_load_b32 v5, v[3:4], off offset:500
	s_wait_loadcnt 0x0
	global_store_b32 v[1:2], v5, off offset:504
	global_load_b32 v5, v[3:4], off offset:496
	;; [unrolled: 3-line block ×125, first 2 shown]
	s_wait_loadcnt 0x0
	global_store_b32 v[1:2], v5, off offset:8
	global_load_b32 v4, v[3:4], off
	v_lshlrev_b32_e32 v3, 2, v0
	ds_store_b32 v3, v6
	s_wait_loadcnt 0x0
	global_store_b32 v[1:2], v4, off offset:4
	s_wait_storecnt_dscnt 0x0
	s_barrier_signal -1
	s_barrier_wait -1
	global_inv scope:SCOPE_SE
	v_cmpx_ne_u32_e32 0, v0
	s_cbranch_execz .LBB46_2
; %bb.1:
	v_add_nc_u32_e32 v0, -4, v3
	ds_load_b32 v0, v0
	s_wait_dscnt 0x0
	global_store_b32 v[1:2], v0, off
.LBB46_2:
	s_endpgm
	.section	.rodata,"a",@progbits
	.p2align	6, 0x0
	.amdhsa_kernel _Z17shuffle_up_kernelILj65ELj128EiEvPT1_S1_
		.amdhsa_group_segment_fixed_size 260
		.amdhsa_private_segment_fixed_size 0
		.amdhsa_kernarg_size 16
		.amdhsa_user_sgpr_count 2
		.amdhsa_user_sgpr_dispatch_ptr 0
		.amdhsa_user_sgpr_queue_ptr 0
		.amdhsa_user_sgpr_kernarg_segment_ptr 1
		.amdhsa_user_sgpr_dispatch_id 0
		.amdhsa_user_sgpr_private_segment_size 0
		.amdhsa_wavefront_size32 1
		.amdhsa_uses_dynamic_stack 0
		.amdhsa_enable_private_segment 0
		.amdhsa_system_sgpr_workgroup_id_x 1
		.amdhsa_system_sgpr_workgroup_id_y 0
		.amdhsa_system_sgpr_workgroup_id_z 0
		.amdhsa_system_sgpr_workgroup_info 0
		.amdhsa_system_vgpr_workitem_id 0
		.amdhsa_next_free_vgpr 7
		.amdhsa_next_free_sgpr 5
		.amdhsa_reserve_vcc 1
		.amdhsa_float_round_mode_32 0
		.amdhsa_float_round_mode_16_64 0
		.amdhsa_float_denorm_mode_32 3
		.amdhsa_float_denorm_mode_16_64 3
		.amdhsa_fp16_overflow 0
		.amdhsa_workgroup_processor_mode 1
		.amdhsa_memory_ordered 1
		.amdhsa_forward_progress 1
		.amdhsa_inst_pref_size 30
		.amdhsa_round_robin_scheduling 0
		.amdhsa_exception_fp_ieee_invalid_op 0
		.amdhsa_exception_fp_denorm_src 0
		.amdhsa_exception_fp_ieee_div_zero 0
		.amdhsa_exception_fp_ieee_overflow 0
		.amdhsa_exception_fp_ieee_underflow 0
		.amdhsa_exception_fp_ieee_inexact 0
		.amdhsa_exception_int_div_zero 0
	.end_amdhsa_kernel
	.section	.text._Z17shuffle_up_kernelILj65ELj128EiEvPT1_S1_,"axG",@progbits,_Z17shuffle_up_kernelILj65ELj128EiEvPT1_S1_,comdat
.Lfunc_end46:
	.size	_Z17shuffle_up_kernelILj65ELj128EiEvPT1_S1_, .Lfunc_end46-_Z17shuffle_up_kernelILj65ELj128EiEvPT1_S1_
                                        ; -- End function
	.set _Z17shuffle_up_kernelILj65ELj128EiEvPT1_S1_.num_vgpr, 7
	.set _Z17shuffle_up_kernelILj65ELj128EiEvPT1_S1_.num_agpr, 0
	.set _Z17shuffle_up_kernelILj65ELj128EiEvPT1_S1_.numbered_sgpr, 5
	.set _Z17shuffle_up_kernelILj65ELj128EiEvPT1_S1_.num_named_barrier, 0
	.set _Z17shuffle_up_kernelILj65ELj128EiEvPT1_S1_.private_seg_size, 0
	.set _Z17shuffle_up_kernelILj65ELj128EiEvPT1_S1_.uses_vcc, 1
	.set _Z17shuffle_up_kernelILj65ELj128EiEvPT1_S1_.uses_flat_scratch, 0
	.set _Z17shuffle_up_kernelILj65ELj128EiEvPT1_S1_.has_dyn_sized_stack, 0
	.set _Z17shuffle_up_kernelILj65ELj128EiEvPT1_S1_.has_recursion, 0
	.set _Z17shuffle_up_kernelILj65ELj128EiEvPT1_S1_.has_indirect_call, 0
	.section	.AMDGPU.csdata,"",@progbits
; Kernel info:
; codeLenInByte = 3716
; TotalNumSgprs: 7
; NumVgprs: 7
; ScratchSize: 0
; MemoryBound: 1
; FloatMode: 240
; IeeeMode: 1
; LDSByteSize: 260 bytes/workgroup (compile time only)
; SGPRBlocks: 0
; VGPRBlocks: 0
; NumSGPRsForWavesPerEU: 7
; NumVGPRsForWavesPerEU: 7
; Occupancy: 16
; WaveLimiterHint : 1
; COMPUTE_PGM_RSRC2:SCRATCH_EN: 0
; COMPUTE_PGM_RSRC2:USER_SGPR: 2
; COMPUTE_PGM_RSRC2:TRAP_HANDLER: 0
; COMPUTE_PGM_RSRC2:TGID_X_EN: 1
; COMPUTE_PGM_RSRC2:TGID_Y_EN: 0
; COMPUTE_PGM_RSRC2:TGID_Z_EN: 0
; COMPUTE_PGM_RSRC2:TIDIG_COMP_CNT: 0
	.section	.text._Z17shuffle_up_kernelILj512ELj128EiEvPT1_S1_,"axG",@progbits,_Z17shuffle_up_kernelILj512ELj128EiEvPT1_S1_,comdat
	.protected	_Z17shuffle_up_kernelILj512ELj128EiEvPT1_S1_ ; -- Begin function _Z17shuffle_up_kernelILj512ELj128EiEvPT1_S1_
	.globl	_Z17shuffle_up_kernelILj512ELj128EiEvPT1_S1_
	.p2align	8
	.type	_Z17shuffle_up_kernelILj512ELj128EiEvPT1_S1_,@function
_Z17shuffle_up_kernelILj512ELj128EiEvPT1_S1_: ; @_Z17shuffle_up_kernelILj512ELj128EiEvPT1_S1_
; %bb.0:
	s_load_b128 s[0:3], s[0:1], 0x0
	v_dual_mov_b32 v2, 0 :: v_dual_lshlrev_b32 v1, 7, v0
	s_delay_alu instid0(VALU_DEP_1) | instskip(NEXT) | instid1(VALU_DEP_1)
	v_lshl_or_b32 v1, ttmp9, 16, v1
	v_lshlrev_b64_e32 v[1:2], 2, v[1:2]
	s_wait_kmcnt 0x0
	s_delay_alu instid0(VALU_DEP_1) | instskip(NEXT) | instid1(VALU_DEP_1)
	v_add_co_u32 v3, vcc_lo, s0, v1
	v_add_co_ci_u32_e64 v4, null, s1, v2, vcc_lo
	v_add_co_u32 v1, vcc_lo, s2, v1
	s_wait_alu 0xfffd
	v_add_co_ci_u32_e64 v2, null, s3, v2, vcc_lo
	global_load_b64 v[5:6], v[3:4], off offset:504
	s_mov_b32 s0, exec_lo
	s_wait_loadcnt 0x0
	global_store_b32 v[1:2], v5, off offset:508
	global_load_b32 v5, v[3:4], off offset:500
	s_wait_loadcnt 0x0
	global_store_b32 v[1:2], v5, off offset:504
	global_load_b32 v5, v[3:4], off offset:496
	;; [unrolled: 3-line block ×125, first 2 shown]
	s_wait_loadcnt 0x0
	global_store_b32 v[1:2], v5, off offset:8
	global_load_b32 v4, v[3:4], off
	v_lshlrev_b32_e32 v3, 2, v0
	ds_store_b32 v3, v6
	s_wait_loadcnt 0x0
	global_store_b32 v[1:2], v4, off offset:4
	s_wait_storecnt_dscnt 0x0
	s_barrier_signal -1
	s_barrier_wait -1
	global_inv scope:SCOPE_SE
	v_cmpx_ne_u32_e32 0, v0
	s_cbranch_execz .LBB47_2
; %bb.1:
	v_add_nc_u32_e32 v0, -4, v3
	ds_load_b32 v0, v0
	s_wait_dscnt 0x0
	global_store_b32 v[1:2], v0, off
.LBB47_2:
	s_endpgm
	.section	.rodata,"a",@progbits
	.p2align	6, 0x0
	.amdhsa_kernel _Z17shuffle_up_kernelILj512ELj128EiEvPT1_S1_
		.amdhsa_group_segment_fixed_size 2048
		.amdhsa_private_segment_fixed_size 0
		.amdhsa_kernarg_size 16
		.amdhsa_user_sgpr_count 2
		.amdhsa_user_sgpr_dispatch_ptr 0
		.amdhsa_user_sgpr_queue_ptr 0
		.amdhsa_user_sgpr_kernarg_segment_ptr 1
		.amdhsa_user_sgpr_dispatch_id 0
		.amdhsa_user_sgpr_private_segment_size 0
		.amdhsa_wavefront_size32 1
		.amdhsa_uses_dynamic_stack 0
		.amdhsa_enable_private_segment 0
		.amdhsa_system_sgpr_workgroup_id_x 1
		.amdhsa_system_sgpr_workgroup_id_y 0
		.amdhsa_system_sgpr_workgroup_id_z 0
		.amdhsa_system_sgpr_workgroup_info 0
		.amdhsa_system_vgpr_workitem_id 0
		.amdhsa_next_free_vgpr 7
		.amdhsa_next_free_sgpr 4
		.amdhsa_reserve_vcc 1
		.amdhsa_float_round_mode_32 0
		.amdhsa_float_round_mode_16_64 0
		.amdhsa_float_denorm_mode_32 3
		.amdhsa_float_denorm_mode_16_64 3
		.amdhsa_fp16_overflow 0
		.amdhsa_workgroup_processor_mode 1
		.amdhsa_memory_ordered 1
		.amdhsa_forward_progress 1
		.amdhsa_inst_pref_size 29
		.amdhsa_round_robin_scheduling 0
		.amdhsa_exception_fp_ieee_invalid_op 0
		.amdhsa_exception_fp_denorm_src 0
		.amdhsa_exception_fp_ieee_div_zero 0
		.amdhsa_exception_fp_ieee_overflow 0
		.amdhsa_exception_fp_ieee_underflow 0
		.amdhsa_exception_fp_ieee_inexact 0
		.amdhsa_exception_int_div_zero 0
	.end_amdhsa_kernel
	.section	.text._Z17shuffle_up_kernelILj512ELj128EiEvPT1_S1_,"axG",@progbits,_Z17shuffle_up_kernelILj512ELj128EiEvPT1_S1_,comdat
.Lfunc_end47:
	.size	_Z17shuffle_up_kernelILj512ELj128EiEvPT1_S1_, .Lfunc_end47-_Z17shuffle_up_kernelILj512ELj128EiEvPT1_S1_
                                        ; -- End function
	.set _Z17shuffle_up_kernelILj512ELj128EiEvPT1_S1_.num_vgpr, 7
	.set _Z17shuffle_up_kernelILj512ELj128EiEvPT1_S1_.num_agpr, 0
	.set _Z17shuffle_up_kernelILj512ELj128EiEvPT1_S1_.numbered_sgpr, 4
	.set _Z17shuffle_up_kernelILj512ELj128EiEvPT1_S1_.num_named_barrier, 0
	.set _Z17shuffle_up_kernelILj512ELj128EiEvPT1_S1_.private_seg_size, 0
	.set _Z17shuffle_up_kernelILj512ELj128EiEvPT1_S1_.uses_vcc, 1
	.set _Z17shuffle_up_kernelILj512ELj128EiEvPT1_S1_.uses_flat_scratch, 0
	.set _Z17shuffle_up_kernelILj512ELj128EiEvPT1_S1_.has_dyn_sized_stack, 0
	.set _Z17shuffle_up_kernelILj512ELj128EiEvPT1_S1_.has_recursion, 0
	.set _Z17shuffle_up_kernelILj512ELj128EiEvPT1_S1_.has_indirect_call, 0
	.section	.AMDGPU.csdata,"",@progbits
; Kernel info:
; codeLenInByte = 3712
; TotalNumSgprs: 6
; NumVgprs: 7
; ScratchSize: 0
; MemoryBound: 1
; FloatMode: 240
; IeeeMode: 1
; LDSByteSize: 2048 bytes/workgroup (compile time only)
; SGPRBlocks: 0
; VGPRBlocks: 0
; NumSGPRsForWavesPerEU: 6
; NumVGPRsForWavesPerEU: 7
; Occupancy: 16
; WaveLimiterHint : 1
; COMPUTE_PGM_RSRC2:SCRATCH_EN: 0
; COMPUTE_PGM_RSRC2:USER_SGPR: 2
; COMPUTE_PGM_RSRC2:TRAP_HANDLER: 0
; COMPUTE_PGM_RSRC2:TGID_X_EN: 1
; COMPUTE_PGM_RSRC2:TGID_Y_EN: 0
; COMPUTE_PGM_RSRC2:TGID_Z_EN: 0
; COMPUTE_PGM_RSRC2:TIDIG_COMP_CNT: 0
	.section	.text._Z17shuffle_up_kernelILj256ELj128EiEvPT1_S1_,"axG",@progbits,_Z17shuffle_up_kernelILj256ELj128EiEvPT1_S1_,comdat
	.protected	_Z17shuffle_up_kernelILj256ELj128EiEvPT1_S1_ ; -- Begin function _Z17shuffle_up_kernelILj256ELj128EiEvPT1_S1_
	.globl	_Z17shuffle_up_kernelILj256ELj128EiEvPT1_S1_
	.p2align	8
	.type	_Z17shuffle_up_kernelILj256ELj128EiEvPT1_S1_,@function
_Z17shuffle_up_kernelILj256ELj128EiEvPT1_S1_: ; @_Z17shuffle_up_kernelILj256ELj128EiEvPT1_S1_
; %bb.0:
	s_load_b128 s[0:3], s[0:1], 0x0
	v_dual_mov_b32 v2, 0 :: v_dual_lshlrev_b32 v1, 7, v0
	s_delay_alu instid0(VALU_DEP_1) | instskip(NEXT) | instid1(VALU_DEP_1)
	v_lshl_or_b32 v1, ttmp9, 15, v1
	v_lshlrev_b64_e32 v[1:2], 2, v[1:2]
	s_wait_kmcnt 0x0
	s_delay_alu instid0(VALU_DEP_1) | instskip(NEXT) | instid1(VALU_DEP_1)
	v_add_co_u32 v3, vcc_lo, s0, v1
	v_add_co_ci_u32_e64 v4, null, s1, v2, vcc_lo
	v_add_co_u32 v1, vcc_lo, s2, v1
	s_wait_alu 0xfffd
	v_add_co_ci_u32_e64 v2, null, s3, v2, vcc_lo
	global_load_b64 v[5:6], v[3:4], off offset:504
	s_mov_b32 s0, exec_lo
	s_wait_loadcnt 0x0
	global_store_b32 v[1:2], v5, off offset:508
	global_load_b32 v5, v[3:4], off offset:500
	s_wait_loadcnt 0x0
	global_store_b32 v[1:2], v5, off offset:504
	global_load_b32 v5, v[3:4], off offset:496
	s_wait_loadcnt 0x0
	global_store_b32 v[1:2], v5, off offset:500
	global_load_b32 v5, v[3:4], off offset:492
	s_wait_loadcnt 0x0
	global_store_b32 v[1:2], v5, off offset:496
	global_load_b32 v5, v[3:4], off offset:488
	s_wait_loadcnt 0x0
	global_store_b32 v[1:2], v5, off offset:492
	global_load_b32 v5, v[3:4], off offset:484
	s_wait_loadcnt 0x0
	global_store_b32 v[1:2], v5, off offset:488
	global_load_b32 v5, v[3:4], off offset:480
	s_wait_loadcnt 0x0
	global_store_b32 v[1:2], v5, off offset:484
	global_load_b32 v5, v[3:4], off offset:476
	s_wait_loadcnt 0x0
	global_store_b32 v[1:2], v5, off offset:480
	global_load_b32 v5, v[3:4], off offset:472
	s_wait_loadcnt 0x0
	global_store_b32 v[1:2], v5, off offset:476
	global_load_b32 v5, v[3:4], off offset:468
	s_wait_loadcnt 0x0
	global_store_b32 v[1:2], v5, off offset:472
	global_load_b32 v5, v[3:4], off offset:464
	s_wait_loadcnt 0x0
	global_store_b32 v[1:2], v5, off offset:468
	global_load_b32 v5, v[3:4], off offset:460
	s_wait_loadcnt 0x0
	global_store_b32 v[1:2], v5, off offset:464
	global_load_b32 v5, v[3:4], off offset:456
	s_wait_loadcnt 0x0
	global_store_b32 v[1:2], v5, off offset:460
	global_load_b32 v5, v[3:4], off offset:452
	s_wait_loadcnt 0x0
	global_store_b32 v[1:2], v5, off offset:456
	global_load_b32 v5, v[3:4], off offset:448
	s_wait_loadcnt 0x0
	global_store_b32 v[1:2], v5, off offset:452
	global_load_b32 v5, v[3:4], off offset:444
	s_wait_loadcnt 0x0
	global_store_b32 v[1:2], v5, off offset:448
	global_load_b32 v5, v[3:4], off offset:440
	s_wait_loadcnt 0x0
	global_store_b32 v[1:2], v5, off offset:444
	global_load_b32 v5, v[3:4], off offset:436
	s_wait_loadcnt 0x0
	global_store_b32 v[1:2], v5, off offset:440
	global_load_b32 v5, v[3:4], off offset:432
	s_wait_loadcnt 0x0
	global_store_b32 v[1:2], v5, off offset:436
	global_load_b32 v5, v[3:4], off offset:428
	s_wait_loadcnt 0x0
	global_store_b32 v[1:2], v5, off offset:432
	global_load_b32 v5, v[3:4], off offset:424
	s_wait_loadcnt 0x0
	global_store_b32 v[1:2], v5, off offset:428
	global_load_b32 v5, v[3:4], off offset:420
	s_wait_loadcnt 0x0
	global_store_b32 v[1:2], v5, off offset:424
	global_load_b32 v5, v[3:4], off offset:416
	s_wait_loadcnt 0x0
	global_store_b32 v[1:2], v5, off offset:420
	global_load_b32 v5, v[3:4], off offset:412
	s_wait_loadcnt 0x0
	global_store_b32 v[1:2], v5, off offset:416
	global_load_b32 v5, v[3:4], off offset:408
	s_wait_loadcnt 0x0
	global_store_b32 v[1:2], v5, off offset:412
	global_load_b32 v5, v[3:4], off offset:404
	s_wait_loadcnt 0x0
	global_store_b32 v[1:2], v5, off offset:408
	global_load_b32 v5, v[3:4], off offset:400
	s_wait_loadcnt 0x0
	global_store_b32 v[1:2], v5, off offset:404
	global_load_b32 v5, v[3:4], off offset:396
	s_wait_loadcnt 0x0
	global_store_b32 v[1:2], v5, off offset:400
	global_load_b32 v5, v[3:4], off offset:392
	s_wait_loadcnt 0x0
	global_store_b32 v[1:2], v5, off offset:396
	global_load_b32 v5, v[3:4], off offset:388
	s_wait_loadcnt 0x0
	global_store_b32 v[1:2], v5, off offset:392
	global_load_b32 v5, v[3:4], off offset:384
	s_wait_loadcnt 0x0
	global_store_b32 v[1:2], v5, off offset:388
	global_load_b32 v5, v[3:4], off offset:380
	s_wait_loadcnt 0x0
	global_store_b32 v[1:2], v5, off offset:384
	global_load_b32 v5, v[3:4], off offset:376
	s_wait_loadcnt 0x0
	global_store_b32 v[1:2], v5, off offset:380
	global_load_b32 v5, v[3:4], off offset:372
	s_wait_loadcnt 0x0
	global_store_b32 v[1:2], v5, off offset:376
	global_load_b32 v5, v[3:4], off offset:368
	s_wait_loadcnt 0x0
	global_store_b32 v[1:2], v5, off offset:372
	global_load_b32 v5, v[3:4], off offset:364
	s_wait_loadcnt 0x0
	global_store_b32 v[1:2], v5, off offset:368
	global_load_b32 v5, v[3:4], off offset:360
	s_wait_loadcnt 0x0
	global_store_b32 v[1:2], v5, off offset:364
	global_load_b32 v5, v[3:4], off offset:356
	s_wait_loadcnt 0x0
	global_store_b32 v[1:2], v5, off offset:360
	global_load_b32 v5, v[3:4], off offset:352
	s_wait_loadcnt 0x0
	global_store_b32 v[1:2], v5, off offset:356
	global_load_b32 v5, v[3:4], off offset:348
	s_wait_loadcnt 0x0
	global_store_b32 v[1:2], v5, off offset:352
	global_load_b32 v5, v[3:4], off offset:344
	s_wait_loadcnt 0x0
	global_store_b32 v[1:2], v5, off offset:348
	global_load_b32 v5, v[3:4], off offset:340
	s_wait_loadcnt 0x0
	global_store_b32 v[1:2], v5, off offset:344
	global_load_b32 v5, v[3:4], off offset:336
	s_wait_loadcnt 0x0
	global_store_b32 v[1:2], v5, off offset:340
	global_load_b32 v5, v[3:4], off offset:332
	s_wait_loadcnt 0x0
	global_store_b32 v[1:2], v5, off offset:336
	global_load_b32 v5, v[3:4], off offset:328
	s_wait_loadcnt 0x0
	global_store_b32 v[1:2], v5, off offset:332
	global_load_b32 v5, v[3:4], off offset:324
	s_wait_loadcnt 0x0
	global_store_b32 v[1:2], v5, off offset:328
	global_load_b32 v5, v[3:4], off offset:320
	s_wait_loadcnt 0x0
	global_store_b32 v[1:2], v5, off offset:324
	global_load_b32 v5, v[3:4], off offset:316
	s_wait_loadcnt 0x0
	global_store_b32 v[1:2], v5, off offset:320
	global_load_b32 v5, v[3:4], off offset:312
	s_wait_loadcnt 0x0
	global_store_b32 v[1:2], v5, off offset:316
	global_load_b32 v5, v[3:4], off offset:308
	s_wait_loadcnt 0x0
	global_store_b32 v[1:2], v5, off offset:312
	global_load_b32 v5, v[3:4], off offset:304
	s_wait_loadcnt 0x0
	global_store_b32 v[1:2], v5, off offset:308
	global_load_b32 v5, v[3:4], off offset:300
	s_wait_loadcnt 0x0
	global_store_b32 v[1:2], v5, off offset:304
	global_load_b32 v5, v[3:4], off offset:296
	s_wait_loadcnt 0x0
	global_store_b32 v[1:2], v5, off offset:300
	global_load_b32 v5, v[3:4], off offset:292
	s_wait_loadcnt 0x0
	global_store_b32 v[1:2], v5, off offset:296
	global_load_b32 v5, v[3:4], off offset:288
	s_wait_loadcnt 0x0
	global_store_b32 v[1:2], v5, off offset:292
	global_load_b32 v5, v[3:4], off offset:284
	s_wait_loadcnt 0x0
	global_store_b32 v[1:2], v5, off offset:288
	global_load_b32 v5, v[3:4], off offset:280
	s_wait_loadcnt 0x0
	global_store_b32 v[1:2], v5, off offset:284
	global_load_b32 v5, v[3:4], off offset:276
	s_wait_loadcnt 0x0
	global_store_b32 v[1:2], v5, off offset:280
	global_load_b32 v5, v[3:4], off offset:272
	s_wait_loadcnt 0x0
	global_store_b32 v[1:2], v5, off offset:276
	global_load_b32 v5, v[3:4], off offset:268
	s_wait_loadcnt 0x0
	global_store_b32 v[1:2], v5, off offset:272
	global_load_b32 v5, v[3:4], off offset:264
	s_wait_loadcnt 0x0
	global_store_b32 v[1:2], v5, off offset:268
	global_load_b32 v5, v[3:4], off offset:260
	s_wait_loadcnt 0x0
	global_store_b32 v[1:2], v5, off offset:264
	global_load_b32 v5, v[3:4], off offset:256
	s_wait_loadcnt 0x0
	global_store_b32 v[1:2], v5, off offset:260
	global_load_b32 v5, v[3:4], off offset:252
	s_wait_loadcnt 0x0
	global_store_b32 v[1:2], v5, off offset:256
	global_load_b32 v5, v[3:4], off offset:248
	s_wait_loadcnt 0x0
	global_store_b32 v[1:2], v5, off offset:252
	global_load_b32 v5, v[3:4], off offset:244
	s_wait_loadcnt 0x0
	global_store_b32 v[1:2], v5, off offset:248
	global_load_b32 v5, v[3:4], off offset:240
	s_wait_loadcnt 0x0
	global_store_b32 v[1:2], v5, off offset:244
	global_load_b32 v5, v[3:4], off offset:236
	s_wait_loadcnt 0x0
	global_store_b32 v[1:2], v5, off offset:240
	global_load_b32 v5, v[3:4], off offset:232
	s_wait_loadcnt 0x0
	global_store_b32 v[1:2], v5, off offset:236
	global_load_b32 v5, v[3:4], off offset:228
	s_wait_loadcnt 0x0
	global_store_b32 v[1:2], v5, off offset:232
	global_load_b32 v5, v[3:4], off offset:224
	s_wait_loadcnt 0x0
	global_store_b32 v[1:2], v5, off offset:228
	global_load_b32 v5, v[3:4], off offset:220
	s_wait_loadcnt 0x0
	global_store_b32 v[1:2], v5, off offset:224
	global_load_b32 v5, v[3:4], off offset:216
	s_wait_loadcnt 0x0
	global_store_b32 v[1:2], v5, off offset:220
	global_load_b32 v5, v[3:4], off offset:212
	s_wait_loadcnt 0x0
	global_store_b32 v[1:2], v5, off offset:216
	global_load_b32 v5, v[3:4], off offset:208
	s_wait_loadcnt 0x0
	global_store_b32 v[1:2], v5, off offset:212
	global_load_b32 v5, v[3:4], off offset:204
	s_wait_loadcnt 0x0
	global_store_b32 v[1:2], v5, off offset:208
	global_load_b32 v5, v[3:4], off offset:200
	s_wait_loadcnt 0x0
	global_store_b32 v[1:2], v5, off offset:204
	global_load_b32 v5, v[3:4], off offset:196
	s_wait_loadcnt 0x0
	global_store_b32 v[1:2], v5, off offset:200
	global_load_b32 v5, v[3:4], off offset:192
	s_wait_loadcnt 0x0
	global_store_b32 v[1:2], v5, off offset:196
	global_load_b32 v5, v[3:4], off offset:188
	s_wait_loadcnt 0x0
	global_store_b32 v[1:2], v5, off offset:192
	global_load_b32 v5, v[3:4], off offset:184
	s_wait_loadcnt 0x0
	global_store_b32 v[1:2], v5, off offset:188
	global_load_b32 v5, v[3:4], off offset:180
	s_wait_loadcnt 0x0
	global_store_b32 v[1:2], v5, off offset:184
	global_load_b32 v5, v[3:4], off offset:176
	s_wait_loadcnt 0x0
	global_store_b32 v[1:2], v5, off offset:180
	global_load_b32 v5, v[3:4], off offset:172
	s_wait_loadcnt 0x0
	global_store_b32 v[1:2], v5, off offset:176
	global_load_b32 v5, v[3:4], off offset:168
	s_wait_loadcnt 0x0
	global_store_b32 v[1:2], v5, off offset:172
	global_load_b32 v5, v[3:4], off offset:164
	s_wait_loadcnt 0x0
	global_store_b32 v[1:2], v5, off offset:168
	global_load_b32 v5, v[3:4], off offset:160
	s_wait_loadcnt 0x0
	global_store_b32 v[1:2], v5, off offset:164
	global_load_b32 v5, v[3:4], off offset:156
	s_wait_loadcnt 0x0
	global_store_b32 v[1:2], v5, off offset:160
	global_load_b32 v5, v[3:4], off offset:152
	s_wait_loadcnt 0x0
	global_store_b32 v[1:2], v5, off offset:156
	global_load_b32 v5, v[3:4], off offset:148
	s_wait_loadcnt 0x0
	global_store_b32 v[1:2], v5, off offset:152
	global_load_b32 v5, v[3:4], off offset:144
	s_wait_loadcnt 0x0
	global_store_b32 v[1:2], v5, off offset:148
	global_load_b32 v5, v[3:4], off offset:140
	s_wait_loadcnt 0x0
	global_store_b32 v[1:2], v5, off offset:144
	global_load_b32 v5, v[3:4], off offset:136
	s_wait_loadcnt 0x0
	global_store_b32 v[1:2], v5, off offset:140
	global_load_b32 v5, v[3:4], off offset:132
	s_wait_loadcnt 0x0
	global_store_b32 v[1:2], v5, off offset:136
	global_load_b32 v5, v[3:4], off offset:128
	s_wait_loadcnt 0x0
	global_store_b32 v[1:2], v5, off offset:132
	global_load_b32 v5, v[3:4], off offset:124
	s_wait_loadcnt 0x0
	global_store_b32 v[1:2], v5, off offset:128
	global_load_b32 v5, v[3:4], off offset:120
	s_wait_loadcnt 0x0
	global_store_b32 v[1:2], v5, off offset:124
	global_load_b32 v5, v[3:4], off offset:116
	s_wait_loadcnt 0x0
	global_store_b32 v[1:2], v5, off offset:120
	global_load_b32 v5, v[3:4], off offset:112
	s_wait_loadcnt 0x0
	global_store_b32 v[1:2], v5, off offset:116
	global_load_b32 v5, v[3:4], off offset:108
	s_wait_loadcnt 0x0
	global_store_b32 v[1:2], v5, off offset:112
	global_load_b32 v5, v[3:4], off offset:104
	s_wait_loadcnt 0x0
	global_store_b32 v[1:2], v5, off offset:108
	global_load_b32 v5, v[3:4], off offset:100
	s_wait_loadcnt 0x0
	global_store_b32 v[1:2], v5, off offset:104
	global_load_b32 v5, v[3:4], off offset:96
	s_wait_loadcnt 0x0
	global_store_b32 v[1:2], v5, off offset:100
	global_load_b32 v5, v[3:4], off offset:92
	s_wait_loadcnt 0x0
	global_store_b32 v[1:2], v5, off offset:96
	global_load_b32 v5, v[3:4], off offset:88
	s_wait_loadcnt 0x0
	global_store_b32 v[1:2], v5, off offset:92
	global_load_b32 v5, v[3:4], off offset:84
	s_wait_loadcnt 0x0
	global_store_b32 v[1:2], v5, off offset:88
	global_load_b32 v5, v[3:4], off offset:80
	s_wait_loadcnt 0x0
	global_store_b32 v[1:2], v5, off offset:84
	global_load_b32 v5, v[3:4], off offset:76
	s_wait_loadcnt 0x0
	global_store_b32 v[1:2], v5, off offset:80
	global_load_b32 v5, v[3:4], off offset:72
	s_wait_loadcnt 0x0
	global_store_b32 v[1:2], v5, off offset:76
	global_load_b32 v5, v[3:4], off offset:68
	s_wait_loadcnt 0x0
	global_store_b32 v[1:2], v5, off offset:72
	global_load_b32 v5, v[3:4], off offset:64
	s_wait_loadcnt 0x0
	global_store_b32 v[1:2], v5, off offset:68
	global_load_b32 v5, v[3:4], off offset:60
	s_wait_loadcnt 0x0
	global_store_b32 v[1:2], v5, off offset:64
	global_load_b32 v5, v[3:4], off offset:56
	s_wait_loadcnt 0x0
	global_store_b32 v[1:2], v5, off offset:60
	global_load_b32 v5, v[3:4], off offset:52
	s_wait_loadcnt 0x0
	global_store_b32 v[1:2], v5, off offset:56
	global_load_b32 v5, v[3:4], off offset:48
	s_wait_loadcnt 0x0
	global_store_b32 v[1:2], v5, off offset:52
	global_load_b32 v5, v[3:4], off offset:44
	s_wait_loadcnt 0x0
	global_store_b32 v[1:2], v5, off offset:48
	global_load_b32 v5, v[3:4], off offset:40
	s_wait_loadcnt 0x0
	global_store_b32 v[1:2], v5, off offset:44
	global_load_b32 v5, v[3:4], off offset:36
	s_wait_loadcnt 0x0
	global_store_b32 v[1:2], v5, off offset:40
	global_load_b32 v5, v[3:4], off offset:32
	s_wait_loadcnt 0x0
	global_store_b32 v[1:2], v5, off offset:36
	global_load_b32 v5, v[3:4], off offset:28
	s_wait_loadcnt 0x0
	global_store_b32 v[1:2], v5, off offset:32
	global_load_b32 v5, v[3:4], off offset:24
	s_wait_loadcnt 0x0
	global_store_b32 v[1:2], v5, off offset:28
	global_load_b32 v5, v[3:4], off offset:20
	s_wait_loadcnt 0x0
	global_store_b32 v[1:2], v5, off offset:24
	global_load_b32 v5, v[3:4], off offset:16
	s_wait_loadcnt 0x0
	global_store_b32 v[1:2], v5, off offset:20
	global_load_b32 v5, v[3:4], off offset:12
	s_wait_loadcnt 0x0
	global_store_b32 v[1:2], v5, off offset:16
	global_load_b32 v5, v[3:4], off offset:8
	s_wait_loadcnt 0x0
	global_store_b32 v[1:2], v5, off offset:12
	global_load_b32 v5, v[3:4], off offset:4
	s_wait_loadcnt 0x0
	global_store_b32 v[1:2], v5, off offset:8
	global_load_b32 v4, v[3:4], off
	v_lshlrev_b32_e32 v3, 2, v0
	ds_store_b32 v3, v6
	s_wait_loadcnt 0x0
	global_store_b32 v[1:2], v4, off offset:4
	s_wait_storecnt_dscnt 0x0
	s_barrier_signal -1
	s_barrier_wait -1
	global_inv scope:SCOPE_SE
	v_cmpx_ne_u32_e32 0, v0
	s_cbranch_execz .LBB48_2
; %bb.1:
	v_add_nc_u32_e32 v0, -4, v3
	ds_load_b32 v0, v0
	s_wait_dscnt 0x0
	global_store_b32 v[1:2], v0, off
.LBB48_2:
	s_endpgm
	.section	.rodata,"a",@progbits
	.p2align	6, 0x0
	.amdhsa_kernel _Z17shuffle_up_kernelILj256ELj128EiEvPT1_S1_
		.amdhsa_group_segment_fixed_size 1024
		.amdhsa_private_segment_fixed_size 0
		.amdhsa_kernarg_size 16
		.amdhsa_user_sgpr_count 2
		.amdhsa_user_sgpr_dispatch_ptr 0
		.amdhsa_user_sgpr_queue_ptr 0
		.amdhsa_user_sgpr_kernarg_segment_ptr 1
		.amdhsa_user_sgpr_dispatch_id 0
		.amdhsa_user_sgpr_private_segment_size 0
		.amdhsa_wavefront_size32 1
		.amdhsa_uses_dynamic_stack 0
		.amdhsa_enable_private_segment 0
		.amdhsa_system_sgpr_workgroup_id_x 1
		.amdhsa_system_sgpr_workgroup_id_y 0
		.amdhsa_system_sgpr_workgroup_id_z 0
		.amdhsa_system_sgpr_workgroup_info 0
		.amdhsa_system_vgpr_workitem_id 0
		.amdhsa_next_free_vgpr 7
		.amdhsa_next_free_sgpr 4
		.amdhsa_reserve_vcc 1
		.amdhsa_float_round_mode_32 0
		.amdhsa_float_round_mode_16_64 0
		.amdhsa_float_denorm_mode_32 3
		.amdhsa_float_denorm_mode_16_64 3
		.amdhsa_fp16_overflow 0
		.amdhsa_workgroup_processor_mode 1
		.amdhsa_memory_ordered 1
		.amdhsa_forward_progress 1
		.amdhsa_inst_pref_size 29
		.amdhsa_round_robin_scheduling 0
		.amdhsa_exception_fp_ieee_invalid_op 0
		.amdhsa_exception_fp_denorm_src 0
		.amdhsa_exception_fp_ieee_div_zero 0
		.amdhsa_exception_fp_ieee_overflow 0
		.amdhsa_exception_fp_ieee_underflow 0
		.amdhsa_exception_fp_ieee_inexact 0
		.amdhsa_exception_int_div_zero 0
	.end_amdhsa_kernel
	.section	.text._Z17shuffle_up_kernelILj256ELj128EiEvPT1_S1_,"axG",@progbits,_Z17shuffle_up_kernelILj256ELj128EiEvPT1_S1_,comdat
.Lfunc_end48:
	.size	_Z17shuffle_up_kernelILj256ELj128EiEvPT1_S1_, .Lfunc_end48-_Z17shuffle_up_kernelILj256ELj128EiEvPT1_S1_
                                        ; -- End function
	.set _Z17shuffle_up_kernelILj256ELj128EiEvPT1_S1_.num_vgpr, 7
	.set _Z17shuffle_up_kernelILj256ELj128EiEvPT1_S1_.num_agpr, 0
	.set _Z17shuffle_up_kernelILj256ELj128EiEvPT1_S1_.numbered_sgpr, 4
	.set _Z17shuffle_up_kernelILj256ELj128EiEvPT1_S1_.num_named_barrier, 0
	.set _Z17shuffle_up_kernelILj256ELj128EiEvPT1_S1_.private_seg_size, 0
	.set _Z17shuffle_up_kernelILj256ELj128EiEvPT1_S1_.uses_vcc, 1
	.set _Z17shuffle_up_kernelILj256ELj128EiEvPT1_S1_.uses_flat_scratch, 0
	.set _Z17shuffle_up_kernelILj256ELj128EiEvPT1_S1_.has_dyn_sized_stack, 0
	.set _Z17shuffle_up_kernelILj256ELj128EiEvPT1_S1_.has_recursion, 0
	.set _Z17shuffle_up_kernelILj256ELj128EiEvPT1_S1_.has_indirect_call, 0
	.section	.AMDGPU.csdata,"",@progbits
; Kernel info:
; codeLenInByte = 3712
; TotalNumSgprs: 6
; NumVgprs: 7
; ScratchSize: 0
; MemoryBound: 1
; FloatMode: 240
; IeeeMode: 1
; LDSByteSize: 1024 bytes/workgroup (compile time only)
; SGPRBlocks: 0
; VGPRBlocks: 0
; NumSGPRsForWavesPerEU: 6
; NumVGPRsForWavesPerEU: 7
; Occupancy: 16
; WaveLimiterHint : 1
; COMPUTE_PGM_RSRC2:SCRATCH_EN: 0
; COMPUTE_PGM_RSRC2:USER_SGPR: 2
; COMPUTE_PGM_RSRC2:TRAP_HANDLER: 0
; COMPUTE_PGM_RSRC2:TGID_X_EN: 1
; COMPUTE_PGM_RSRC2:TGID_Y_EN: 0
; COMPUTE_PGM_RSRC2:TGID_Z_EN: 0
; COMPUTE_PGM_RSRC2:TIDIG_COMP_CNT: 0
	.section	.text._Z17shuffle_up_kernelILj128ELj128EiEvPT1_S1_,"axG",@progbits,_Z17shuffle_up_kernelILj128ELj128EiEvPT1_S1_,comdat
	.protected	_Z17shuffle_up_kernelILj128ELj128EiEvPT1_S1_ ; -- Begin function _Z17shuffle_up_kernelILj128ELj128EiEvPT1_S1_
	.globl	_Z17shuffle_up_kernelILj128ELj128EiEvPT1_S1_
	.p2align	8
	.type	_Z17shuffle_up_kernelILj128ELj128EiEvPT1_S1_,@function
_Z17shuffle_up_kernelILj128ELj128EiEvPT1_S1_: ; @_Z17shuffle_up_kernelILj128ELj128EiEvPT1_S1_
; %bb.0:
	s_load_b128 s[0:3], s[0:1], 0x0
	v_dual_mov_b32 v2, 0 :: v_dual_lshlrev_b32 v1, 7, v0
	s_delay_alu instid0(VALU_DEP_1) | instskip(NEXT) | instid1(VALU_DEP_1)
	v_lshl_or_b32 v1, ttmp9, 14, v1
	v_lshlrev_b64_e32 v[1:2], 2, v[1:2]
	s_wait_kmcnt 0x0
	s_delay_alu instid0(VALU_DEP_1) | instskip(NEXT) | instid1(VALU_DEP_1)
	v_add_co_u32 v3, vcc_lo, s0, v1
	v_add_co_ci_u32_e64 v4, null, s1, v2, vcc_lo
	v_add_co_u32 v1, vcc_lo, s2, v1
	s_wait_alu 0xfffd
	v_add_co_ci_u32_e64 v2, null, s3, v2, vcc_lo
	global_load_b64 v[5:6], v[3:4], off offset:504
	s_mov_b32 s0, exec_lo
	s_wait_loadcnt 0x0
	global_store_b32 v[1:2], v5, off offset:508
	global_load_b32 v5, v[3:4], off offset:500
	s_wait_loadcnt 0x0
	global_store_b32 v[1:2], v5, off offset:504
	global_load_b32 v5, v[3:4], off offset:496
	;; [unrolled: 3-line block ×125, first 2 shown]
	s_wait_loadcnt 0x0
	global_store_b32 v[1:2], v5, off offset:8
	global_load_b32 v4, v[3:4], off
	v_lshlrev_b32_e32 v3, 2, v0
	ds_store_b32 v3, v6
	s_wait_loadcnt 0x0
	global_store_b32 v[1:2], v4, off offset:4
	s_wait_storecnt_dscnt 0x0
	s_barrier_signal -1
	s_barrier_wait -1
	global_inv scope:SCOPE_SE
	v_cmpx_ne_u32_e32 0, v0
	s_cbranch_execz .LBB49_2
; %bb.1:
	v_add_nc_u32_e32 v0, -4, v3
	ds_load_b32 v0, v0
	s_wait_dscnt 0x0
	global_store_b32 v[1:2], v0, off
.LBB49_2:
	s_endpgm
	.section	.rodata,"a",@progbits
	.p2align	6, 0x0
	.amdhsa_kernel _Z17shuffle_up_kernelILj128ELj128EiEvPT1_S1_
		.amdhsa_group_segment_fixed_size 512
		.amdhsa_private_segment_fixed_size 0
		.amdhsa_kernarg_size 16
		.amdhsa_user_sgpr_count 2
		.amdhsa_user_sgpr_dispatch_ptr 0
		.amdhsa_user_sgpr_queue_ptr 0
		.amdhsa_user_sgpr_kernarg_segment_ptr 1
		.amdhsa_user_sgpr_dispatch_id 0
		.amdhsa_user_sgpr_private_segment_size 0
		.amdhsa_wavefront_size32 1
		.amdhsa_uses_dynamic_stack 0
		.amdhsa_enable_private_segment 0
		.amdhsa_system_sgpr_workgroup_id_x 1
		.amdhsa_system_sgpr_workgroup_id_y 0
		.amdhsa_system_sgpr_workgroup_id_z 0
		.amdhsa_system_sgpr_workgroup_info 0
		.amdhsa_system_vgpr_workitem_id 0
		.amdhsa_next_free_vgpr 7
		.amdhsa_next_free_sgpr 4
		.amdhsa_reserve_vcc 1
		.amdhsa_float_round_mode_32 0
		.amdhsa_float_round_mode_16_64 0
		.amdhsa_float_denorm_mode_32 3
		.amdhsa_float_denorm_mode_16_64 3
		.amdhsa_fp16_overflow 0
		.amdhsa_workgroup_processor_mode 1
		.amdhsa_memory_ordered 1
		.amdhsa_forward_progress 1
		.amdhsa_inst_pref_size 29
		.amdhsa_round_robin_scheduling 0
		.amdhsa_exception_fp_ieee_invalid_op 0
		.amdhsa_exception_fp_denorm_src 0
		.amdhsa_exception_fp_ieee_div_zero 0
		.amdhsa_exception_fp_ieee_overflow 0
		.amdhsa_exception_fp_ieee_underflow 0
		.amdhsa_exception_fp_ieee_inexact 0
		.amdhsa_exception_int_div_zero 0
	.end_amdhsa_kernel
	.section	.text._Z17shuffle_up_kernelILj128ELj128EiEvPT1_S1_,"axG",@progbits,_Z17shuffle_up_kernelILj128ELj128EiEvPT1_S1_,comdat
.Lfunc_end49:
	.size	_Z17shuffle_up_kernelILj128ELj128EiEvPT1_S1_, .Lfunc_end49-_Z17shuffle_up_kernelILj128ELj128EiEvPT1_S1_
                                        ; -- End function
	.set _Z17shuffle_up_kernelILj128ELj128EiEvPT1_S1_.num_vgpr, 7
	.set _Z17shuffle_up_kernelILj128ELj128EiEvPT1_S1_.num_agpr, 0
	.set _Z17shuffle_up_kernelILj128ELj128EiEvPT1_S1_.numbered_sgpr, 4
	.set _Z17shuffle_up_kernelILj128ELj128EiEvPT1_S1_.num_named_barrier, 0
	.set _Z17shuffle_up_kernelILj128ELj128EiEvPT1_S1_.private_seg_size, 0
	.set _Z17shuffle_up_kernelILj128ELj128EiEvPT1_S1_.uses_vcc, 1
	.set _Z17shuffle_up_kernelILj128ELj128EiEvPT1_S1_.uses_flat_scratch, 0
	.set _Z17shuffle_up_kernelILj128ELj128EiEvPT1_S1_.has_dyn_sized_stack, 0
	.set _Z17shuffle_up_kernelILj128ELj128EiEvPT1_S1_.has_recursion, 0
	.set _Z17shuffle_up_kernelILj128ELj128EiEvPT1_S1_.has_indirect_call, 0
	.section	.AMDGPU.csdata,"",@progbits
; Kernel info:
; codeLenInByte = 3712
; TotalNumSgprs: 6
; NumVgprs: 7
; ScratchSize: 0
; MemoryBound: 1
; FloatMode: 240
; IeeeMode: 1
; LDSByteSize: 512 bytes/workgroup (compile time only)
; SGPRBlocks: 0
; VGPRBlocks: 0
; NumSGPRsForWavesPerEU: 6
; NumVGPRsForWavesPerEU: 7
; Occupancy: 16
; WaveLimiterHint : 1
; COMPUTE_PGM_RSRC2:SCRATCH_EN: 0
; COMPUTE_PGM_RSRC2:USER_SGPR: 2
; COMPUTE_PGM_RSRC2:TRAP_HANDLER: 0
; COMPUTE_PGM_RSRC2:TGID_X_EN: 1
; COMPUTE_PGM_RSRC2:TGID_Y_EN: 0
; COMPUTE_PGM_RSRC2:TGID_Z_EN: 0
; COMPUTE_PGM_RSRC2:TIDIG_COMP_CNT: 0
	.section	.text._Z17shuffle_up_kernelILj64ELj128EiEvPT1_S1_,"axG",@progbits,_Z17shuffle_up_kernelILj64ELj128EiEvPT1_S1_,comdat
	.protected	_Z17shuffle_up_kernelILj64ELj128EiEvPT1_S1_ ; -- Begin function _Z17shuffle_up_kernelILj64ELj128EiEvPT1_S1_
	.globl	_Z17shuffle_up_kernelILj64ELj128EiEvPT1_S1_
	.p2align	8
	.type	_Z17shuffle_up_kernelILj64ELj128EiEvPT1_S1_,@function
_Z17shuffle_up_kernelILj64ELj128EiEvPT1_S1_: ; @_Z17shuffle_up_kernelILj64ELj128EiEvPT1_S1_
; %bb.0:
	s_load_b128 s[0:3], s[0:1], 0x0
	v_dual_mov_b32 v2, 0 :: v_dual_lshlrev_b32 v1, 7, v0
	s_delay_alu instid0(VALU_DEP_1) | instskip(NEXT) | instid1(VALU_DEP_1)
	v_lshl_or_b32 v1, ttmp9, 13, v1
	v_lshlrev_b64_e32 v[1:2], 2, v[1:2]
	s_wait_kmcnt 0x0
	s_delay_alu instid0(VALU_DEP_1) | instskip(NEXT) | instid1(VALU_DEP_1)
	v_add_co_u32 v3, vcc_lo, s0, v1
	v_add_co_ci_u32_e64 v4, null, s1, v2, vcc_lo
	v_add_co_u32 v1, vcc_lo, s2, v1
	s_wait_alu 0xfffd
	v_add_co_ci_u32_e64 v2, null, s3, v2, vcc_lo
	global_load_b64 v[5:6], v[3:4], off offset:504
	s_mov_b32 s0, exec_lo
	s_wait_loadcnt 0x0
	global_store_b32 v[1:2], v5, off offset:508
	global_load_b32 v5, v[3:4], off offset:500
	s_wait_loadcnt 0x0
	global_store_b32 v[1:2], v5, off offset:504
	global_load_b32 v5, v[3:4], off offset:496
	;; [unrolled: 3-line block ×125, first 2 shown]
	s_wait_loadcnt 0x0
	global_store_b32 v[1:2], v5, off offset:8
	global_load_b32 v4, v[3:4], off
	v_lshlrev_b32_e32 v3, 2, v0
	ds_store_b32 v3, v6
	s_wait_loadcnt 0x0
	global_store_b32 v[1:2], v4, off offset:4
	s_wait_storecnt_dscnt 0x0
	s_barrier_signal -1
	s_barrier_wait -1
	global_inv scope:SCOPE_SE
	v_cmpx_ne_u32_e32 0, v0
	s_cbranch_execz .LBB50_2
; %bb.1:
	v_add_nc_u32_e32 v0, -4, v3
	ds_load_b32 v0, v0
	s_wait_dscnt 0x0
	global_store_b32 v[1:2], v0, off
.LBB50_2:
	s_endpgm
	.section	.rodata,"a",@progbits
	.p2align	6, 0x0
	.amdhsa_kernel _Z17shuffle_up_kernelILj64ELj128EiEvPT1_S1_
		.amdhsa_group_segment_fixed_size 256
		.amdhsa_private_segment_fixed_size 0
		.amdhsa_kernarg_size 16
		.amdhsa_user_sgpr_count 2
		.amdhsa_user_sgpr_dispatch_ptr 0
		.amdhsa_user_sgpr_queue_ptr 0
		.amdhsa_user_sgpr_kernarg_segment_ptr 1
		.amdhsa_user_sgpr_dispatch_id 0
		.amdhsa_user_sgpr_private_segment_size 0
		.amdhsa_wavefront_size32 1
		.amdhsa_uses_dynamic_stack 0
		.amdhsa_enable_private_segment 0
		.amdhsa_system_sgpr_workgroup_id_x 1
		.amdhsa_system_sgpr_workgroup_id_y 0
		.amdhsa_system_sgpr_workgroup_id_z 0
		.amdhsa_system_sgpr_workgroup_info 0
		.amdhsa_system_vgpr_workitem_id 0
		.amdhsa_next_free_vgpr 7
		.amdhsa_next_free_sgpr 4
		.amdhsa_reserve_vcc 1
		.amdhsa_float_round_mode_32 0
		.amdhsa_float_round_mode_16_64 0
		.amdhsa_float_denorm_mode_32 3
		.amdhsa_float_denorm_mode_16_64 3
		.amdhsa_fp16_overflow 0
		.amdhsa_workgroup_processor_mode 1
		.amdhsa_memory_ordered 1
		.amdhsa_forward_progress 1
		.amdhsa_inst_pref_size 29
		.amdhsa_round_robin_scheduling 0
		.amdhsa_exception_fp_ieee_invalid_op 0
		.amdhsa_exception_fp_denorm_src 0
		.amdhsa_exception_fp_ieee_div_zero 0
		.amdhsa_exception_fp_ieee_overflow 0
		.amdhsa_exception_fp_ieee_underflow 0
		.amdhsa_exception_fp_ieee_inexact 0
		.amdhsa_exception_int_div_zero 0
	.end_amdhsa_kernel
	.section	.text._Z17shuffle_up_kernelILj64ELj128EiEvPT1_S1_,"axG",@progbits,_Z17shuffle_up_kernelILj64ELj128EiEvPT1_S1_,comdat
.Lfunc_end50:
	.size	_Z17shuffle_up_kernelILj64ELj128EiEvPT1_S1_, .Lfunc_end50-_Z17shuffle_up_kernelILj64ELj128EiEvPT1_S1_
                                        ; -- End function
	.set _Z17shuffle_up_kernelILj64ELj128EiEvPT1_S1_.num_vgpr, 7
	.set _Z17shuffle_up_kernelILj64ELj128EiEvPT1_S1_.num_agpr, 0
	.set _Z17shuffle_up_kernelILj64ELj128EiEvPT1_S1_.numbered_sgpr, 4
	.set _Z17shuffle_up_kernelILj64ELj128EiEvPT1_S1_.num_named_barrier, 0
	.set _Z17shuffle_up_kernelILj64ELj128EiEvPT1_S1_.private_seg_size, 0
	.set _Z17shuffle_up_kernelILj64ELj128EiEvPT1_S1_.uses_vcc, 1
	.set _Z17shuffle_up_kernelILj64ELj128EiEvPT1_S1_.uses_flat_scratch, 0
	.set _Z17shuffle_up_kernelILj64ELj128EiEvPT1_S1_.has_dyn_sized_stack, 0
	.set _Z17shuffle_up_kernelILj64ELj128EiEvPT1_S1_.has_recursion, 0
	.set _Z17shuffle_up_kernelILj64ELj128EiEvPT1_S1_.has_indirect_call, 0
	.section	.AMDGPU.csdata,"",@progbits
; Kernel info:
; codeLenInByte = 3712
; TotalNumSgprs: 6
; NumVgprs: 7
; ScratchSize: 0
; MemoryBound: 1
; FloatMode: 240
; IeeeMode: 1
; LDSByteSize: 256 bytes/workgroup (compile time only)
; SGPRBlocks: 0
; VGPRBlocks: 0
; NumSGPRsForWavesPerEU: 6
; NumVGPRsForWavesPerEU: 7
; Occupancy: 16
; WaveLimiterHint : 1
; COMPUTE_PGM_RSRC2:SCRATCH_EN: 0
; COMPUTE_PGM_RSRC2:USER_SGPR: 2
; COMPUTE_PGM_RSRC2:TRAP_HANDLER: 0
; COMPUTE_PGM_RSRC2:TGID_X_EN: 1
; COMPUTE_PGM_RSRC2:TGID_Y_EN: 0
; COMPUTE_PGM_RSRC2:TGID_Z_EN: 0
; COMPUTE_PGM_RSRC2:TIDIG_COMP_CNT: 0
	.section	.text._Z19shuffle_down_kernelILj32ELj128E12hip_bfloat16EvPT1_S2_,"axG",@progbits,_Z19shuffle_down_kernelILj32ELj128E12hip_bfloat16EvPT1_S2_,comdat
	.protected	_Z19shuffle_down_kernelILj32ELj128E12hip_bfloat16EvPT1_S2_ ; -- Begin function _Z19shuffle_down_kernelILj32ELj128E12hip_bfloat16EvPT1_S2_
	.globl	_Z19shuffle_down_kernelILj32ELj128E12hip_bfloat16EvPT1_S2_
	.p2align	8
	.type	_Z19shuffle_down_kernelILj32ELj128E12hip_bfloat16EvPT1_S2_,@function
_Z19shuffle_down_kernelILj32ELj128E12hip_bfloat16EvPT1_S2_: ; @_Z19shuffle_down_kernelILj32ELj128E12hip_bfloat16EvPT1_S2_
; %bb.0:
	s_load_b128 s[0:3], s[0:1], 0x0
	v_dual_mov_b32 v2, 0 :: v_dual_lshlrev_b32 v1, 7, v0
	s_delay_alu instid0(VALU_DEP_1) | instskip(NEXT) | instid1(VALU_DEP_1)
	v_lshl_or_b32 v1, ttmp9, 12, v1
	v_lshlrev_b64_e32 v[1:2], 1, v[1:2]
	s_wait_kmcnt 0x0
	s_delay_alu instid0(VALU_DEP_1) | instskip(NEXT) | instid1(VALU_DEP_1)
	v_add_co_u32 v3, vcc_lo, s0, v1
	v_add_co_ci_u32_e64 v4, null, s1, v2, vcc_lo
	v_add_co_u32 v1, vcc_lo, s2, v1
	s_wait_alu 0xfffd
	v_add_co_ci_u32_e64 v2, null, s3, v2, vcc_lo
	global_load_b32 v5, v[3:4], off
	s_mov_b32 s0, exec_lo
	s_wait_loadcnt 0x0
	global_store_d16_hi_b16 v[1:2], v5, off
	global_load_u16 v6, v[3:4], off offset:4
	s_wait_loadcnt 0x0
	global_store_b16 v[1:2], v6, off offset:2
	global_load_u16 v6, v[3:4], off offset:6
	s_wait_loadcnt 0x0
	global_store_b16 v[1:2], v6, off offset:4
	;; [unrolled: 3-line block ×125, first 2 shown]
	global_load_u16 v4, v[3:4], off offset:254
	v_lshlrev_b32_e32 v3, 1, v0
	ds_store_b16 v3, v5
	s_wait_loadcnt 0x0
	global_store_b16 v[1:2], v4, off offset:252
	; wave barrier
	s_wait_storecnt_dscnt 0x0
	global_inv scope:SCOPE_SE
	v_cmpx_gt_u32_e32 31, v0
	s_cbranch_execz .LBB51_2
; %bb.1:
	ds_load_u16 v0, v3 offset:2
	s_wait_dscnt 0x0
	global_store_b16 v[1:2], v0, off offset:254
.LBB51_2:
	s_endpgm
	.section	.rodata,"a",@progbits
	.p2align	6, 0x0
	.amdhsa_kernel _Z19shuffle_down_kernelILj32ELj128E12hip_bfloat16EvPT1_S2_
		.amdhsa_group_segment_fixed_size 64
		.amdhsa_private_segment_fixed_size 0
		.amdhsa_kernarg_size 16
		.amdhsa_user_sgpr_count 2
		.amdhsa_user_sgpr_dispatch_ptr 0
		.amdhsa_user_sgpr_queue_ptr 0
		.amdhsa_user_sgpr_kernarg_segment_ptr 1
		.amdhsa_user_sgpr_dispatch_id 0
		.amdhsa_user_sgpr_private_segment_size 0
		.amdhsa_wavefront_size32 1
		.amdhsa_uses_dynamic_stack 0
		.amdhsa_enable_private_segment 0
		.amdhsa_system_sgpr_workgroup_id_x 1
		.amdhsa_system_sgpr_workgroup_id_y 0
		.amdhsa_system_sgpr_workgroup_id_z 0
		.amdhsa_system_sgpr_workgroup_info 0
		.amdhsa_system_vgpr_workitem_id 0
		.amdhsa_next_free_vgpr 7
		.amdhsa_next_free_sgpr 4
		.amdhsa_reserve_vcc 1
		.amdhsa_float_round_mode_32 0
		.amdhsa_float_round_mode_16_64 0
		.amdhsa_float_denorm_mode_32 3
		.amdhsa_float_denorm_mode_16_64 3
		.amdhsa_fp16_overflow 0
		.amdhsa_workgroup_processor_mode 1
		.amdhsa_memory_ordered 1
		.amdhsa_forward_progress 1
		.amdhsa_inst_pref_size 29
		.amdhsa_round_robin_scheduling 0
		.amdhsa_exception_fp_ieee_invalid_op 0
		.amdhsa_exception_fp_denorm_src 0
		.amdhsa_exception_fp_ieee_div_zero 0
		.amdhsa_exception_fp_ieee_overflow 0
		.amdhsa_exception_fp_ieee_underflow 0
		.amdhsa_exception_fp_ieee_inexact 0
		.amdhsa_exception_int_div_zero 0
	.end_amdhsa_kernel
	.section	.text._Z19shuffle_down_kernelILj32ELj128E12hip_bfloat16EvPT1_S2_,"axG",@progbits,_Z19shuffle_down_kernelILj32ELj128E12hip_bfloat16EvPT1_S2_,comdat
.Lfunc_end51:
	.size	_Z19shuffle_down_kernelILj32ELj128E12hip_bfloat16EvPT1_S2_, .Lfunc_end51-_Z19shuffle_down_kernelILj32ELj128E12hip_bfloat16EvPT1_S2_
                                        ; -- End function
	.set _Z19shuffle_down_kernelILj32ELj128E12hip_bfloat16EvPT1_S2_.num_vgpr, 7
	.set _Z19shuffle_down_kernelILj32ELj128E12hip_bfloat16EvPT1_S2_.num_agpr, 0
	.set _Z19shuffle_down_kernelILj32ELj128E12hip_bfloat16EvPT1_S2_.numbered_sgpr, 4
	.set _Z19shuffle_down_kernelILj32ELj128E12hip_bfloat16EvPT1_S2_.num_named_barrier, 0
	.set _Z19shuffle_down_kernelILj32ELj128E12hip_bfloat16EvPT1_S2_.private_seg_size, 0
	.set _Z19shuffle_down_kernelILj32ELj128E12hip_bfloat16EvPT1_S2_.uses_vcc, 1
	.set _Z19shuffle_down_kernelILj32ELj128E12hip_bfloat16EvPT1_S2_.uses_flat_scratch, 0
	.set _Z19shuffle_down_kernelILj32ELj128E12hip_bfloat16EvPT1_S2_.has_dyn_sized_stack, 0
	.set _Z19shuffle_down_kernelILj32ELj128E12hip_bfloat16EvPT1_S2_.has_recursion, 0
	.set _Z19shuffle_down_kernelILj32ELj128E12hip_bfloat16EvPT1_S2_.has_indirect_call, 0
	.section	.AMDGPU.csdata,"",@progbits
; Kernel info:
; codeLenInByte = 3700
; TotalNumSgprs: 6
; NumVgprs: 7
; ScratchSize: 0
; MemoryBound: 1
; FloatMode: 240
; IeeeMode: 1
; LDSByteSize: 64 bytes/workgroup (compile time only)
; SGPRBlocks: 0
; VGPRBlocks: 0
; NumSGPRsForWavesPerEU: 6
; NumVGPRsForWavesPerEU: 7
; Occupancy: 16
; WaveLimiterHint : 1
; COMPUTE_PGM_RSRC2:SCRATCH_EN: 0
; COMPUTE_PGM_RSRC2:USER_SGPR: 2
; COMPUTE_PGM_RSRC2:TRAP_HANDLER: 0
; COMPUTE_PGM_RSRC2:TGID_X_EN: 1
; COMPUTE_PGM_RSRC2:TGID_Y_EN: 0
; COMPUTE_PGM_RSRC2:TGID_Z_EN: 0
; COMPUTE_PGM_RSRC2:TIDIG_COMP_CNT: 0
	.section	.text._Z19shuffle_down_kernelILj32ELj128E6__halfEvPT1_S2_,"axG",@progbits,_Z19shuffle_down_kernelILj32ELj128E6__halfEvPT1_S2_,comdat
	.protected	_Z19shuffle_down_kernelILj32ELj128E6__halfEvPT1_S2_ ; -- Begin function _Z19shuffle_down_kernelILj32ELj128E6__halfEvPT1_S2_
	.globl	_Z19shuffle_down_kernelILj32ELj128E6__halfEvPT1_S2_
	.p2align	8
	.type	_Z19shuffle_down_kernelILj32ELj128E6__halfEvPT1_S2_,@function
_Z19shuffle_down_kernelILj32ELj128E6__halfEvPT1_S2_: ; @_Z19shuffle_down_kernelILj32ELj128E6__halfEvPT1_S2_
; %bb.0:
	s_load_b128 s[0:3], s[0:1], 0x0
	v_dual_mov_b32 v2, 0 :: v_dual_lshlrev_b32 v1, 7, v0
	s_delay_alu instid0(VALU_DEP_1) | instskip(NEXT) | instid1(VALU_DEP_1)
	v_lshl_or_b32 v1, ttmp9, 12, v1
	v_lshlrev_b64_e32 v[1:2], 1, v[1:2]
	s_wait_kmcnt 0x0
	s_delay_alu instid0(VALU_DEP_1) | instskip(NEXT) | instid1(VALU_DEP_1)
	v_add_co_u32 v3, vcc_lo, s0, v1
	v_add_co_ci_u32_e64 v4, null, s1, v2, vcc_lo
	v_add_co_u32 v1, vcc_lo, s2, v1
	s_wait_alu 0xfffd
	v_add_co_ci_u32_e64 v2, null, s3, v2, vcc_lo
	global_load_b32 v5, v[3:4], off
	s_mov_b32 s0, exec_lo
	s_wait_loadcnt 0x0
	global_store_d16_hi_b16 v[1:2], v5, off
	global_load_u16 v6, v[3:4], off offset:4
	s_wait_loadcnt 0x0
	global_store_b16 v[1:2], v6, off offset:2
	global_load_u16 v6, v[3:4], off offset:6
	s_wait_loadcnt 0x0
	global_store_b16 v[1:2], v6, off offset:4
	;; [unrolled: 3-line block ×125, first 2 shown]
	global_load_u16 v4, v[3:4], off offset:254
	v_lshlrev_b32_e32 v3, 1, v0
	ds_store_b16 v3, v5
	s_wait_loadcnt 0x0
	global_store_b16 v[1:2], v4, off offset:252
	; wave barrier
	s_wait_storecnt_dscnt 0x0
	global_inv scope:SCOPE_SE
	v_cmpx_gt_u32_e32 31, v0
	s_cbranch_execz .LBB52_2
; %bb.1:
	ds_load_u16 v0, v3 offset:2
	s_wait_dscnt 0x0
	global_store_b16 v[1:2], v0, off offset:254
.LBB52_2:
	s_endpgm
	.section	.rodata,"a",@progbits
	.p2align	6, 0x0
	.amdhsa_kernel _Z19shuffle_down_kernelILj32ELj128E6__halfEvPT1_S2_
		.amdhsa_group_segment_fixed_size 64
		.amdhsa_private_segment_fixed_size 0
		.amdhsa_kernarg_size 16
		.amdhsa_user_sgpr_count 2
		.amdhsa_user_sgpr_dispatch_ptr 0
		.amdhsa_user_sgpr_queue_ptr 0
		.amdhsa_user_sgpr_kernarg_segment_ptr 1
		.amdhsa_user_sgpr_dispatch_id 0
		.amdhsa_user_sgpr_private_segment_size 0
		.amdhsa_wavefront_size32 1
		.amdhsa_uses_dynamic_stack 0
		.amdhsa_enable_private_segment 0
		.amdhsa_system_sgpr_workgroup_id_x 1
		.amdhsa_system_sgpr_workgroup_id_y 0
		.amdhsa_system_sgpr_workgroup_id_z 0
		.amdhsa_system_sgpr_workgroup_info 0
		.amdhsa_system_vgpr_workitem_id 0
		.amdhsa_next_free_vgpr 7
		.amdhsa_next_free_sgpr 4
		.amdhsa_reserve_vcc 1
		.amdhsa_float_round_mode_32 0
		.amdhsa_float_round_mode_16_64 0
		.amdhsa_float_denorm_mode_32 3
		.amdhsa_float_denorm_mode_16_64 3
		.amdhsa_fp16_overflow 0
		.amdhsa_workgroup_processor_mode 1
		.amdhsa_memory_ordered 1
		.amdhsa_forward_progress 1
		.amdhsa_inst_pref_size 29
		.amdhsa_round_robin_scheduling 0
		.amdhsa_exception_fp_ieee_invalid_op 0
		.amdhsa_exception_fp_denorm_src 0
		.amdhsa_exception_fp_ieee_div_zero 0
		.amdhsa_exception_fp_ieee_overflow 0
		.amdhsa_exception_fp_ieee_underflow 0
		.amdhsa_exception_fp_ieee_inexact 0
		.amdhsa_exception_int_div_zero 0
	.end_amdhsa_kernel
	.section	.text._Z19shuffle_down_kernelILj32ELj128E6__halfEvPT1_S2_,"axG",@progbits,_Z19shuffle_down_kernelILj32ELj128E6__halfEvPT1_S2_,comdat
.Lfunc_end52:
	.size	_Z19shuffle_down_kernelILj32ELj128E6__halfEvPT1_S2_, .Lfunc_end52-_Z19shuffle_down_kernelILj32ELj128E6__halfEvPT1_S2_
                                        ; -- End function
	.set _Z19shuffle_down_kernelILj32ELj128E6__halfEvPT1_S2_.num_vgpr, 7
	.set _Z19shuffle_down_kernelILj32ELj128E6__halfEvPT1_S2_.num_agpr, 0
	.set _Z19shuffle_down_kernelILj32ELj128E6__halfEvPT1_S2_.numbered_sgpr, 4
	.set _Z19shuffle_down_kernelILj32ELj128E6__halfEvPT1_S2_.num_named_barrier, 0
	.set _Z19shuffle_down_kernelILj32ELj128E6__halfEvPT1_S2_.private_seg_size, 0
	.set _Z19shuffle_down_kernelILj32ELj128E6__halfEvPT1_S2_.uses_vcc, 1
	.set _Z19shuffle_down_kernelILj32ELj128E6__halfEvPT1_S2_.uses_flat_scratch, 0
	.set _Z19shuffle_down_kernelILj32ELj128E6__halfEvPT1_S2_.has_dyn_sized_stack, 0
	.set _Z19shuffle_down_kernelILj32ELj128E6__halfEvPT1_S2_.has_recursion, 0
	.set _Z19shuffle_down_kernelILj32ELj128E6__halfEvPT1_S2_.has_indirect_call, 0
	.section	.AMDGPU.csdata,"",@progbits
; Kernel info:
; codeLenInByte = 3700
; TotalNumSgprs: 6
; NumVgprs: 7
; ScratchSize: 0
; MemoryBound: 1
; FloatMode: 240
; IeeeMode: 1
; LDSByteSize: 64 bytes/workgroup (compile time only)
; SGPRBlocks: 0
; VGPRBlocks: 0
; NumSGPRsForWavesPerEU: 6
; NumVGPRsForWavesPerEU: 7
; Occupancy: 16
; WaveLimiterHint : 1
; COMPUTE_PGM_RSRC2:SCRATCH_EN: 0
; COMPUTE_PGM_RSRC2:USER_SGPR: 2
; COMPUTE_PGM_RSRC2:TRAP_HANDLER: 0
; COMPUTE_PGM_RSRC2:TGID_X_EN: 1
; COMPUTE_PGM_RSRC2:TGID_Y_EN: 0
; COMPUTE_PGM_RSRC2:TGID_Z_EN: 0
; COMPUTE_PGM_RSRC2:TIDIG_COMP_CNT: 0
	.section	.text._Z19shuffle_down_kernelILj32ELj128EfEvPT1_S1_,"axG",@progbits,_Z19shuffle_down_kernelILj32ELj128EfEvPT1_S1_,comdat
	.protected	_Z19shuffle_down_kernelILj32ELj128EfEvPT1_S1_ ; -- Begin function _Z19shuffle_down_kernelILj32ELj128EfEvPT1_S1_
	.globl	_Z19shuffle_down_kernelILj32ELj128EfEvPT1_S1_
	.p2align	8
	.type	_Z19shuffle_down_kernelILj32ELj128EfEvPT1_S1_,@function
_Z19shuffle_down_kernelILj32ELj128EfEvPT1_S1_: ; @_Z19shuffle_down_kernelILj32ELj128EfEvPT1_S1_
; %bb.0:
	s_load_b128 s[0:3], s[0:1], 0x0
	v_dual_mov_b32 v2, 0 :: v_dual_lshlrev_b32 v1, 7, v0
	s_delay_alu instid0(VALU_DEP_1) | instskip(NEXT) | instid1(VALU_DEP_1)
	v_lshl_or_b32 v1, ttmp9, 12, v1
	v_lshlrev_b64_e32 v[1:2], 2, v[1:2]
	s_wait_kmcnt 0x0
	s_delay_alu instid0(VALU_DEP_1) | instskip(NEXT) | instid1(VALU_DEP_1)
	v_add_co_u32 v3, vcc_lo, s0, v1
	v_add_co_ci_u32_e64 v4, null, s1, v2, vcc_lo
	v_add_co_u32 v1, vcc_lo, s2, v1
	s_wait_alu 0xfffd
	v_add_co_ci_u32_e64 v2, null, s3, v2, vcc_lo
	global_load_b64 v[5:6], v[3:4], off
	s_mov_b32 s0, exec_lo
	s_wait_loadcnt 0x0
	global_store_b32 v[1:2], v6, off
	global_load_b32 v6, v[3:4], off offset:8
	s_wait_loadcnt 0x0
	global_store_b32 v[1:2], v6, off offset:4
	global_load_b32 v6, v[3:4], off offset:12
	s_wait_loadcnt 0x0
	global_store_b32 v[1:2], v6, off offset:8
	global_load_b32 v6, v[3:4], off offset:16
	s_wait_loadcnt 0x0
	global_store_b32 v[1:2], v6, off offset:12
	global_load_b32 v6, v[3:4], off offset:20
	s_wait_loadcnt 0x0
	global_store_b32 v[1:2], v6, off offset:16
	global_load_b32 v6, v[3:4], off offset:24
	s_wait_loadcnt 0x0
	global_store_b32 v[1:2], v6, off offset:20
	global_load_b32 v6, v[3:4], off offset:28
	s_wait_loadcnt 0x0
	global_store_b32 v[1:2], v6, off offset:24
	global_load_b32 v6, v[3:4], off offset:32
	s_wait_loadcnt 0x0
	global_store_b32 v[1:2], v6, off offset:28
	global_load_b32 v6, v[3:4], off offset:36
	s_wait_loadcnt 0x0
	global_store_b32 v[1:2], v6, off offset:32
	global_load_b32 v6, v[3:4], off offset:40
	s_wait_loadcnt 0x0
	global_store_b32 v[1:2], v6, off offset:36
	global_load_b32 v6, v[3:4], off offset:44
	s_wait_loadcnt 0x0
	global_store_b32 v[1:2], v6, off offset:40
	global_load_b32 v6, v[3:4], off offset:48
	s_wait_loadcnt 0x0
	global_store_b32 v[1:2], v6, off offset:44
	global_load_b32 v6, v[3:4], off offset:52
	s_wait_loadcnt 0x0
	global_store_b32 v[1:2], v6, off offset:48
	global_load_b32 v6, v[3:4], off offset:56
	s_wait_loadcnt 0x0
	global_store_b32 v[1:2], v6, off offset:52
	global_load_b32 v6, v[3:4], off offset:60
	s_wait_loadcnt 0x0
	global_store_b32 v[1:2], v6, off offset:56
	global_load_b32 v6, v[3:4], off offset:64
	s_wait_loadcnt 0x0
	global_store_b32 v[1:2], v6, off offset:60
	global_load_b32 v6, v[3:4], off offset:68
	s_wait_loadcnt 0x0
	global_store_b32 v[1:2], v6, off offset:64
	global_load_b32 v6, v[3:4], off offset:72
	s_wait_loadcnt 0x0
	global_store_b32 v[1:2], v6, off offset:68
	global_load_b32 v6, v[3:4], off offset:76
	s_wait_loadcnt 0x0
	global_store_b32 v[1:2], v6, off offset:72
	global_load_b32 v6, v[3:4], off offset:80
	s_wait_loadcnt 0x0
	global_store_b32 v[1:2], v6, off offset:76
	global_load_b32 v6, v[3:4], off offset:84
	s_wait_loadcnt 0x0
	global_store_b32 v[1:2], v6, off offset:80
	global_load_b32 v6, v[3:4], off offset:88
	s_wait_loadcnt 0x0
	global_store_b32 v[1:2], v6, off offset:84
	global_load_b32 v6, v[3:4], off offset:92
	s_wait_loadcnt 0x0
	global_store_b32 v[1:2], v6, off offset:88
	global_load_b32 v6, v[3:4], off offset:96
	s_wait_loadcnt 0x0
	global_store_b32 v[1:2], v6, off offset:92
	global_load_b32 v6, v[3:4], off offset:100
	s_wait_loadcnt 0x0
	global_store_b32 v[1:2], v6, off offset:96
	global_load_b32 v6, v[3:4], off offset:104
	s_wait_loadcnt 0x0
	global_store_b32 v[1:2], v6, off offset:100
	global_load_b32 v6, v[3:4], off offset:108
	s_wait_loadcnt 0x0
	global_store_b32 v[1:2], v6, off offset:104
	global_load_b32 v6, v[3:4], off offset:112
	s_wait_loadcnt 0x0
	global_store_b32 v[1:2], v6, off offset:108
	global_load_b32 v6, v[3:4], off offset:116
	s_wait_loadcnt 0x0
	global_store_b32 v[1:2], v6, off offset:112
	global_load_b32 v6, v[3:4], off offset:120
	s_wait_loadcnt 0x0
	global_store_b32 v[1:2], v6, off offset:116
	global_load_b32 v6, v[3:4], off offset:124
	s_wait_loadcnt 0x0
	global_store_b32 v[1:2], v6, off offset:120
	global_load_b32 v6, v[3:4], off offset:128
	s_wait_loadcnt 0x0
	global_store_b32 v[1:2], v6, off offset:124
	global_load_b32 v6, v[3:4], off offset:132
	s_wait_loadcnt 0x0
	global_store_b32 v[1:2], v6, off offset:128
	global_load_b32 v6, v[3:4], off offset:136
	s_wait_loadcnt 0x0
	global_store_b32 v[1:2], v6, off offset:132
	global_load_b32 v6, v[3:4], off offset:140
	s_wait_loadcnt 0x0
	global_store_b32 v[1:2], v6, off offset:136
	global_load_b32 v6, v[3:4], off offset:144
	s_wait_loadcnt 0x0
	global_store_b32 v[1:2], v6, off offset:140
	global_load_b32 v6, v[3:4], off offset:148
	s_wait_loadcnt 0x0
	global_store_b32 v[1:2], v6, off offset:144
	global_load_b32 v6, v[3:4], off offset:152
	s_wait_loadcnt 0x0
	global_store_b32 v[1:2], v6, off offset:148
	global_load_b32 v6, v[3:4], off offset:156
	s_wait_loadcnt 0x0
	global_store_b32 v[1:2], v6, off offset:152
	global_load_b32 v6, v[3:4], off offset:160
	s_wait_loadcnt 0x0
	global_store_b32 v[1:2], v6, off offset:156
	global_load_b32 v6, v[3:4], off offset:164
	s_wait_loadcnt 0x0
	global_store_b32 v[1:2], v6, off offset:160
	global_load_b32 v6, v[3:4], off offset:168
	s_wait_loadcnt 0x0
	global_store_b32 v[1:2], v6, off offset:164
	global_load_b32 v6, v[3:4], off offset:172
	s_wait_loadcnt 0x0
	global_store_b32 v[1:2], v6, off offset:168
	global_load_b32 v6, v[3:4], off offset:176
	s_wait_loadcnt 0x0
	global_store_b32 v[1:2], v6, off offset:172
	global_load_b32 v6, v[3:4], off offset:180
	s_wait_loadcnt 0x0
	global_store_b32 v[1:2], v6, off offset:176
	global_load_b32 v6, v[3:4], off offset:184
	s_wait_loadcnt 0x0
	global_store_b32 v[1:2], v6, off offset:180
	global_load_b32 v6, v[3:4], off offset:188
	s_wait_loadcnt 0x0
	global_store_b32 v[1:2], v6, off offset:184
	global_load_b32 v6, v[3:4], off offset:192
	s_wait_loadcnt 0x0
	global_store_b32 v[1:2], v6, off offset:188
	global_load_b32 v6, v[3:4], off offset:196
	s_wait_loadcnt 0x0
	global_store_b32 v[1:2], v6, off offset:192
	global_load_b32 v6, v[3:4], off offset:200
	s_wait_loadcnt 0x0
	global_store_b32 v[1:2], v6, off offset:196
	global_load_b32 v6, v[3:4], off offset:204
	s_wait_loadcnt 0x0
	global_store_b32 v[1:2], v6, off offset:200
	global_load_b32 v6, v[3:4], off offset:208
	s_wait_loadcnt 0x0
	global_store_b32 v[1:2], v6, off offset:204
	global_load_b32 v6, v[3:4], off offset:212
	s_wait_loadcnt 0x0
	global_store_b32 v[1:2], v6, off offset:208
	global_load_b32 v6, v[3:4], off offset:216
	s_wait_loadcnt 0x0
	global_store_b32 v[1:2], v6, off offset:212
	global_load_b32 v6, v[3:4], off offset:220
	s_wait_loadcnt 0x0
	global_store_b32 v[1:2], v6, off offset:216
	global_load_b32 v6, v[3:4], off offset:224
	s_wait_loadcnt 0x0
	global_store_b32 v[1:2], v6, off offset:220
	global_load_b32 v6, v[3:4], off offset:228
	s_wait_loadcnt 0x0
	global_store_b32 v[1:2], v6, off offset:224
	global_load_b32 v6, v[3:4], off offset:232
	s_wait_loadcnt 0x0
	global_store_b32 v[1:2], v6, off offset:228
	global_load_b32 v6, v[3:4], off offset:236
	s_wait_loadcnt 0x0
	global_store_b32 v[1:2], v6, off offset:232
	global_load_b32 v6, v[3:4], off offset:240
	s_wait_loadcnt 0x0
	global_store_b32 v[1:2], v6, off offset:236
	global_load_b32 v6, v[3:4], off offset:244
	s_wait_loadcnt 0x0
	global_store_b32 v[1:2], v6, off offset:240
	global_load_b32 v6, v[3:4], off offset:248
	s_wait_loadcnt 0x0
	global_store_b32 v[1:2], v6, off offset:244
	global_load_b32 v6, v[3:4], off offset:252
	s_wait_loadcnt 0x0
	global_store_b32 v[1:2], v6, off offset:248
	global_load_b32 v6, v[3:4], off offset:256
	s_wait_loadcnt 0x0
	global_store_b32 v[1:2], v6, off offset:252
	global_load_b32 v6, v[3:4], off offset:260
	s_wait_loadcnt 0x0
	global_store_b32 v[1:2], v6, off offset:256
	global_load_b32 v6, v[3:4], off offset:264
	s_wait_loadcnt 0x0
	global_store_b32 v[1:2], v6, off offset:260
	global_load_b32 v6, v[3:4], off offset:268
	s_wait_loadcnt 0x0
	global_store_b32 v[1:2], v6, off offset:264
	global_load_b32 v6, v[3:4], off offset:272
	s_wait_loadcnt 0x0
	global_store_b32 v[1:2], v6, off offset:268
	global_load_b32 v6, v[3:4], off offset:276
	s_wait_loadcnt 0x0
	global_store_b32 v[1:2], v6, off offset:272
	global_load_b32 v6, v[3:4], off offset:280
	s_wait_loadcnt 0x0
	global_store_b32 v[1:2], v6, off offset:276
	global_load_b32 v6, v[3:4], off offset:284
	s_wait_loadcnt 0x0
	global_store_b32 v[1:2], v6, off offset:280
	global_load_b32 v6, v[3:4], off offset:288
	s_wait_loadcnt 0x0
	global_store_b32 v[1:2], v6, off offset:284
	global_load_b32 v6, v[3:4], off offset:292
	s_wait_loadcnt 0x0
	global_store_b32 v[1:2], v6, off offset:288
	global_load_b32 v6, v[3:4], off offset:296
	s_wait_loadcnt 0x0
	global_store_b32 v[1:2], v6, off offset:292
	global_load_b32 v6, v[3:4], off offset:300
	s_wait_loadcnt 0x0
	global_store_b32 v[1:2], v6, off offset:296
	global_load_b32 v6, v[3:4], off offset:304
	s_wait_loadcnt 0x0
	global_store_b32 v[1:2], v6, off offset:300
	global_load_b32 v6, v[3:4], off offset:308
	s_wait_loadcnt 0x0
	global_store_b32 v[1:2], v6, off offset:304
	global_load_b32 v6, v[3:4], off offset:312
	s_wait_loadcnt 0x0
	global_store_b32 v[1:2], v6, off offset:308
	global_load_b32 v6, v[3:4], off offset:316
	s_wait_loadcnt 0x0
	global_store_b32 v[1:2], v6, off offset:312
	global_load_b32 v6, v[3:4], off offset:320
	s_wait_loadcnt 0x0
	global_store_b32 v[1:2], v6, off offset:316
	global_load_b32 v6, v[3:4], off offset:324
	s_wait_loadcnt 0x0
	global_store_b32 v[1:2], v6, off offset:320
	global_load_b32 v6, v[3:4], off offset:328
	s_wait_loadcnt 0x0
	global_store_b32 v[1:2], v6, off offset:324
	global_load_b32 v6, v[3:4], off offset:332
	s_wait_loadcnt 0x0
	global_store_b32 v[1:2], v6, off offset:328
	global_load_b32 v6, v[3:4], off offset:336
	s_wait_loadcnt 0x0
	global_store_b32 v[1:2], v6, off offset:332
	global_load_b32 v6, v[3:4], off offset:340
	s_wait_loadcnt 0x0
	global_store_b32 v[1:2], v6, off offset:336
	global_load_b32 v6, v[3:4], off offset:344
	s_wait_loadcnt 0x0
	global_store_b32 v[1:2], v6, off offset:340
	global_load_b32 v6, v[3:4], off offset:348
	s_wait_loadcnt 0x0
	global_store_b32 v[1:2], v6, off offset:344
	global_load_b32 v6, v[3:4], off offset:352
	s_wait_loadcnt 0x0
	global_store_b32 v[1:2], v6, off offset:348
	global_load_b32 v6, v[3:4], off offset:356
	s_wait_loadcnt 0x0
	global_store_b32 v[1:2], v6, off offset:352
	global_load_b32 v6, v[3:4], off offset:360
	s_wait_loadcnt 0x0
	global_store_b32 v[1:2], v6, off offset:356
	global_load_b32 v6, v[3:4], off offset:364
	s_wait_loadcnt 0x0
	global_store_b32 v[1:2], v6, off offset:360
	global_load_b32 v6, v[3:4], off offset:368
	s_wait_loadcnt 0x0
	global_store_b32 v[1:2], v6, off offset:364
	global_load_b32 v6, v[3:4], off offset:372
	s_wait_loadcnt 0x0
	global_store_b32 v[1:2], v6, off offset:368
	global_load_b32 v6, v[3:4], off offset:376
	s_wait_loadcnt 0x0
	global_store_b32 v[1:2], v6, off offset:372
	global_load_b32 v6, v[3:4], off offset:380
	s_wait_loadcnt 0x0
	global_store_b32 v[1:2], v6, off offset:376
	global_load_b32 v6, v[3:4], off offset:384
	s_wait_loadcnt 0x0
	global_store_b32 v[1:2], v6, off offset:380
	global_load_b32 v6, v[3:4], off offset:388
	s_wait_loadcnt 0x0
	global_store_b32 v[1:2], v6, off offset:384
	global_load_b32 v6, v[3:4], off offset:392
	s_wait_loadcnt 0x0
	global_store_b32 v[1:2], v6, off offset:388
	global_load_b32 v6, v[3:4], off offset:396
	s_wait_loadcnt 0x0
	global_store_b32 v[1:2], v6, off offset:392
	global_load_b32 v6, v[3:4], off offset:400
	s_wait_loadcnt 0x0
	global_store_b32 v[1:2], v6, off offset:396
	global_load_b32 v6, v[3:4], off offset:404
	s_wait_loadcnt 0x0
	global_store_b32 v[1:2], v6, off offset:400
	global_load_b32 v6, v[3:4], off offset:408
	s_wait_loadcnt 0x0
	global_store_b32 v[1:2], v6, off offset:404
	global_load_b32 v6, v[3:4], off offset:412
	s_wait_loadcnt 0x0
	global_store_b32 v[1:2], v6, off offset:408
	global_load_b32 v6, v[3:4], off offset:416
	s_wait_loadcnt 0x0
	global_store_b32 v[1:2], v6, off offset:412
	global_load_b32 v6, v[3:4], off offset:420
	s_wait_loadcnt 0x0
	global_store_b32 v[1:2], v6, off offset:416
	global_load_b32 v6, v[3:4], off offset:424
	s_wait_loadcnt 0x0
	global_store_b32 v[1:2], v6, off offset:420
	global_load_b32 v6, v[3:4], off offset:428
	s_wait_loadcnt 0x0
	global_store_b32 v[1:2], v6, off offset:424
	global_load_b32 v6, v[3:4], off offset:432
	s_wait_loadcnt 0x0
	global_store_b32 v[1:2], v6, off offset:428
	global_load_b32 v6, v[3:4], off offset:436
	s_wait_loadcnt 0x0
	global_store_b32 v[1:2], v6, off offset:432
	global_load_b32 v6, v[3:4], off offset:440
	s_wait_loadcnt 0x0
	global_store_b32 v[1:2], v6, off offset:436
	global_load_b32 v6, v[3:4], off offset:444
	s_wait_loadcnt 0x0
	global_store_b32 v[1:2], v6, off offset:440
	global_load_b32 v6, v[3:4], off offset:448
	s_wait_loadcnt 0x0
	global_store_b32 v[1:2], v6, off offset:444
	global_load_b32 v6, v[3:4], off offset:452
	s_wait_loadcnt 0x0
	global_store_b32 v[1:2], v6, off offset:448
	global_load_b32 v6, v[3:4], off offset:456
	s_wait_loadcnt 0x0
	global_store_b32 v[1:2], v6, off offset:452
	global_load_b32 v6, v[3:4], off offset:460
	s_wait_loadcnt 0x0
	global_store_b32 v[1:2], v6, off offset:456
	global_load_b32 v6, v[3:4], off offset:464
	s_wait_loadcnt 0x0
	global_store_b32 v[1:2], v6, off offset:460
	global_load_b32 v6, v[3:4], off offset:468
	s_wait_loadcnt 0x0
	global_store_b32 v[1:2], v6, off offset:464
	global_load_b32 v6, v[3:4], off offset:472
	s_wait_loadcnt 0x0
	global_store_b32 v[1:2], v6, off offset:468
	global_load_b32 v6, v[3:4], off offset:476
	s_wait_loadcnt 0x0
	global_store_b32 v[1:2], v6, off offset:472
	global_load_b32 v6, v[3:4], off offset:480
	s_wait_loadcnt 0x0
	global_store_b32 v[1:2], v6, off offset:476
	global_load_b32 v6, v[3:4], off offset:484
	s_wait_loadcnt 0x0
	global_store_b32 v[1:2], v6, off offset:480
	global_load_b32 v6, v[3:4], off offset:488
	s_wait_loadcnt 0x0
	global_store_b32 v[1:2], v6, off offset:484
	global_load_b32 v6, v[3:4], off offset:492
	s_wait_loadcnt 0x0
	global_store_b32 v[1:2], v6, off offset:488
	global_load_b32 v6, v[3:4], off offset:496
	s_wait_loadcnt 0x0
	global_store_b32 v[1:2], v6, off offset:492
	global_load_b32 v6, v[3:4], off offset:500
	s_wait_loadcnt 0x0
	global_store_b32 v[1:2], v6, off offset:496
	global_load_b32 v6, v[3:4], off offset:504
	s_wait_loadcnt 0x0
	global_store_b32 v[1:2], v6, off offset:500
	global_load_b32 v4, v[3:4], off offset:508
	v_lshlrev_b32_e32 v3, 2, v0
	ds_store_b32 v3, v5
	s_wait_loadcnt 0x0
	global_store_b32 v[1:2], v4, off offset:504
	; wave barrier
	s_wait_storecnt_dscnt 0x0
	global_inv scope:SCOPE_SE
	v_cmpx_gt_u32_e32 31, v0
	s_cbranch_execz .LBB53_2
; %bb.1:
	ds_load_b32 v0, v3 offset:4
	s_wait_dscnt 0x0
	global_store_b32 v[1:2], v0, off offset:508
.LBB53_2:
	s_endpgm
	.section	.rodata,"a",@progbits
	.p2align	6, 0x0
	.amdhsa_kernel _Z19shuffle_down_kernelILj32ELj128EfEvPT1_S1_
		.amdhsa_group_segment_fixed_size 128
		.amdhsa_private_segment_fixed_size 0
		.amdhsa_kernarg_size 16
		.amdhsa_user_sgpr_count 2
		.amdhsa_user_sgpr_dispatch_ptr 0
		.amdhsa_user_sgpr_queue_ptr 0
		.amdhsa_user_sgpr_kernarg_segment_ptr 1
		.amdhsa_user_sgpr_dispatch_id 0
		.amdhsa_user_sgpr_private_segment_size 0
		.amdhsa_wavefront_size32 1
		.amdhsa_uses_dynamic_stack 0
		.amdhsa_enable_private_segment 0
		.amdhsa_system_sgpr_workgroup_id_x 1
		.amdhsa_system_sgpr_workgroup_id_y 0
		.amdhsa_system_sgpr_workgroup_id_z 0
		.amdhsa_system_sgpr_workgroup_info 0
		.amdhsa_system_vgpr_workitem_id 0
		.amdhsa_next_free_vgpr 7
		.amdhsa_next_free_sgpr 4
		.amdhsa_reserve_vcc 1
		.amdhsa_float_round_mode_32 0
		.amdhsa_float_round_mode_16_64 0
		.amdhsa_float_denorm_mode_32 3
		.amdhsa_float_denorm_mode_16_64 3
		.amdhsa_fp16_overflow 0
		.amdhsa_workgroup_processor_mode 1
		.amdhsa_memory_ordered 1
		.amdhsa_forward_progress 1
		.amdhsa_inst_pref_size 29
		.amdhsa_round_robin_scheduling 0
		.amdhsa_exception_fp_ieee_invalid_op 0
		.amdhsa_exception_fp_denorm_src 0
		.amdhsa_exception_fp_ieee_div_zero 0
		.amdhsa_exception_fp_ieee_overflow 0
		.amdhsa_exception_fp_ieee_underflow 0
		.amdhsa_exception_fp_ieee_inexact 0
		.amdhsa_exception_int_div_zero 0
	.end_amdhsa_kernel
	.section	.text._Z19shuffle_down_kernelILj32ELj128EfEvPT1_S1_,"axG",@progbits,_Z19shuffle_down_kernelILj32ELj128EfEvPT1_S1_,comdat
.Lfunc_end53:
	.size	_Z19shuffle_down_kernelILj32ELj128EfEvPT1_S1_, .Lfunc_end53-_Z19shuffle_down_kernelILj32ELj128EfEvPT1_S1_
                                        ; -- End function
	.set _Z19shuffle_down_kernelILj32ELj128EfEvPT1_S1_.num_vgpr, 7
	.set _Z19shuffle_down_kernelILj32ELj128EfEvPT1_S1_.num_agpr, 0
	.set _Z19shuffle_down_kernelILj32ELj128EfEvPT1_S1_.numbered_sgpr, 4
	.set _Z19shuffle_down_kernelILj32ELj128EfEvPT1_S1_.num_named_barrier, 0
	.set _Z19shuffle_down_kernelILj32ELj128EfEvPT1_S1_.private_seg_size, 0
	.set _Z19shuffle_down_kernelILj32ELj128EfEvPT1_S1_.uses_vcc, 1
	.set _Z19shuffle_down_kernelILj32ELj128EfEvPT1_S1_.uses_flat_scratch, 0
	.set _Z19shuffle_down_kernelILj32ELj128EfEvPT1_S1_.has_dyn_sized_stack, 0
	.set _Z19shuffle_down_kernelILj32ELj128EfEvPT1_S1_.has_recursion, 0
	.set _Z19shuffle_down_kernelILj32ELj128EfEvPT1_S1_.has_indirect_call, 0
	.section	.AMDGPU.csdata,"",@progbits
; Kernel info:
; codeLenInByte = 3700
; TotalNumSgprs: 6
; NumVgprs: 7
; ScratchSize: 0
; MemoryBound: 1
; FloatMode: 240
; IeeeMode: 1
; LDSByteSize: 128 bytes/workgroup (compile time only)
; SGPRBlocks: 0
; VGPRBlocks: 0
; NumSGPRsForWavesPerEU: 6
; NumVGPRsForWavesPerEU: 7
; Occupancy: 16
; WaveLimiterHint : 1
; COMPUTE_PGM_RSRC2:SCRATCH_EN: 0
; COMPUTE_PGM_RSRC2:USER_SGPR: 2
; COMPUTE_PGM_RSRC2:TRAP_HANDLER: 0
; COMPUTE_PGM_RSRC2:TGID_X_EN: 1
; COMPUTE_PGM_RSRC2:TGID_Y_EN: 0
; COMPUTE_PGM_RSRC2:TGID_Z_EN: 0
; COMPUTE_PGM_RSRC2:TIDIG_COMP_CNT: 0
	.section	.text._Z19shuffle_down_kernelILj377ELj128ElEvPT1_S1_,"axG",@progbits,_Z19shuffle_down_kernelILj377ELj128ElEvPT1_S1_,comdat
	.protected	_Z19shuffle_down_kernelILj377ELj128ElEvPT1_S1_ ; -- Begin function _Z19shuffle_down_kernelILj377ELj128ElEvPT1_S1_
	.globl	_Z19shuffle_down_kernelILj377ELj128ElEvPT1_S1_
	.p2align	8
	.type	_Z19shuffle_down_kernelILj377ELj128ElEvPT1_S1_,@function
_Z19shuffle_down_kernelILj377ELj128ElEvPT1_S1_: ; @_Z19shuffle_down_kernelILj377ELj128ElEvPT1_S1_
; %bb.0:
	s_load_b128 s[0:3], s[0:1], 0x0
	s_mul_i32 s4, ttmp9, 0x179
	v_dual_mov_b32 v2, 0 :: v_dual_lshlrev_b32 v3, 3, v0
	v_add_lshl_u32 v1, s4, v0, 7
	s_delay_alu instid0(VALU_DEP_1) | instskip(SKIP_1) | instid1(VALU_DEP_1)
	v_lshlrev_b64_e32 v[1:2], 3, v[1:2]
	s_wait_kmcnt 0x0
	v_add_co_u32 v8, vcc_lo, s0, v1
	s_delay_alu instid0(VALU_DEP_1)
	v_add_co_ci_u32_e64 v9, null, s1, v2, vcc_lo
	v_add_co_u32 v1, vcc_lo, s2, v1
	s_wait_alu 0xfffd
	v_add_co_ci_u32_e64 v2, null, s3, v2, vcc_lo
	global_load_b128 v[4:7], v[8:9], off
	s_mov_b32 s0, exec_lo
	s_wait_loadcnt 0x0
	global_store_b64 v[1:2], v[6:7], off
	global_load_b64 v[6:7], v[8:9], off offset:16
	ds_store_b64 v3, v[4:5]
	s_wait_loadcnt 0x0
	global_store_b64 v[1:2], v[6:7], off offset:8
	global_load_b64 v[6:7], v[8:9], off offset:24
	s_wait_loadcnt 0x0
	global_store_b64 v[1:2], v[6:7], off offset:16
	global_load_b64 v[6:7], v[8:9], off offset:32
	;; [unrolled: 3-line block ×125, first 2 shown]
	s_wait_loadcnt 0x0
	global_store_b64 v[1:2], v[6:7], off offset:1008
	s_wait_storecnt_dscnt 0x0
	s_barrier_signal -1
	s_barrier_wait -1
	global_inv scope:SCOPE_SE
	v_cmpx_gt_u32_e32 0x178, v0
	s_cbranch_execz .LBB54_2
; %bb.1:
	ds_load_b64 v[3:4], v3 offset:8
	s_wait_dscnt 0x0
	global_store_b64 v[1:2], v[3:4], off offset:1016
.LBB54_2:
	s_endpgm
	.section	.rodata,"a",@progbits
	.p2align	6, 0x0
	.amdhsa_kernel _Z19shuffle_down_kernelILj377ELj128ElEvPT1_S1_
		.amdhsa_group_segment_fixed_size 3016
		.amdhsa_private_segment_fixed_size 0
		.amdhsa_kernarg_size 16
		.amdhsa_user_sgpr_count 2
		.amdhsa_user_sgpr_dispatch_ptr 0
		.amdhsa_user_sgpr_queue_ptr 0
		.amdhsa_user_sgpr_kernarg_segment_ptr 1
		.amdhsa_user_sgpr_dispatch_id 0
		.amdhsa_user_sgpr_private_segment_size 0
		.amdhsa_wavefront_size32 1
		.amdhsa_uses_dynamic_stack 0
		.amdhsa_enable_private_segment 0
		.amdhsa_system_sgpr_workgroup_id_x 1
		.amdhsa_system_sgpr_workgroup_id_y 0
		.amdhsa_system_sgpr_workgroup_id_z 0
		.amdhsa_system_sgpr_workgroup_info 0
		.amdhsa_system_vgpr_workitem_id 0
		.amdhsa_next_free_vgpr 10
		.amdhsa_next_free_sgpr 5
		.amdhsa_reserve_vcc 1
		.amdhsa_float_round_mode_32 0
		.amdhsa_float_round_mode_16_64 0
		.amdhsa_float_denorm_mode_32 3
		.amdhsa_float_denorm_mode_16_64 3
		.amdhsa_fp16_overflow 0
		.amdhsa_workgroup_processor_mode 1
		.amdhsa_memory_ordered 1
		.amdhsa_forward_progress 1
		.amdhsa_inst_pref_size 30
		.amdhsa_round_robin_scheduling 0
		.amdhsa_exception_fp_ieee_invalid_op 0
		.amdhsa_exception_fp_denorm_src 0
		.amdhsa_exception_fp_ieee_div_zero 0
		.amdhsa_exception_fp_ieee_overflow 0
		.amdhsa_exception_fp_ieee_underflow 0
		.amdhsa_exception_fp_ieee_inexact 0
		.amdhsa_exception_int_div_zero 0
	.end_amdhsa_kernel
	.section	.text._Z19shuffle_down_kernelILj377ELj128ElEvPT1_S1_,"axG",@progbits,_Z19shuffle_down_kernelILj377ELj128ElEvPT1_S1_,comdat
.Lfunc_end54:
	.size	_Z19shuffle_down_kernelILj377ELj128ElEvPT1_S1_, .Lfunc_end54-_Z19shuffle_down_kernelILj377ELj128ElEvPT1_S1_
                                        ; -- End function
	.set _Z19shuffle_down_kernelILj377ELj128ElEvPT1_S1_.num_vgpr, 10
	.set _Z19shuffle_down_kernelILj377ELj128ElEvPT1_S1_.num_agpr, 0
	.set _Z19shuffle_down_kernelILj377ELj128ElEvPT1_S1_.numbered_sgpr, 5
	.set _Z19shuffle_down_kernelILj377ELj128ElEvPT1_S1_.num_named_barrier, 0
	.set _Z19shuffle_down_kernelILj377ELj128ElEvPT1_S1_.private_seg_size, 0
	.set _Z19shuffle_down_kernelILj377ELj128ElEvPT1_S1_.uses_vcc, 1
	.set _Z19shuffle_down_kernelILj377ELj128ElEvPT1_S1_.uses_flat_scratch, 0
	.set _Z19shuffle_down_kernelILj377ELj128ElEvPT1_S1_.has_dyn_sized_stack, 0
	.set _Z19shuffle_down_kernelILj377ELj128ElEvPT1_S1_.has_recursion, 0
	.set _Z19shuffle_down_kernelILj377ELj128ElEvPT1_S1_.has_indirect_call, 0
	.section	.AMDGPU.csdata,"",@progbits
; Kernel info:
; codeLenInByte = 3716
; TotalNumSgprs: 7
; NumVgprs: 10
; ScratchSize: 0
; MemoryBound: 1
; FloatMode: 240
; IeeeMode: 1
; LDSByteSize: 3016 bytes/workgroup (compile time only)
; SGPRBlocks: 0
; VGPRBlocks: 1
; NumSGPRsForWavesPerEU: 7
; NumVGPRsForWavesPerEU: 10
; Occupancy: 15
; WaveLimiterHint : 1
; COMPUTE_PGM_RSRC2:SCRATCH_EN: 0
; COMPUTE_PGM_RSRC2:USER_SGPR: 2
; COMPUTE_PGM_RSRC2:TRAP_HANDLER: 0
; COMPUTE_PGM_RSRC2:TGID_X_EN: 1
; COMPUTE_PGM_RSRC2:TGID_Y_EN: 0
; COMPUTE_PGM_RSRC2:TGID_Z_EN: 0
; COMPUTE_PGM_RSRC2:TIDIG_COMP_CNT: 0
	.section	.text._Z19shuffle_down_kernelILj256ELj128ElEvPT1_S1_,"axG",@progbits,_Z19shuffle_down_kernelILj256ELj128ElEvPT1_S1_,comdat
	.protected	_Z19shuffle_down_kernelILj256ELj128ElEvPT1_S1_ ; -- Begin function _Z19shuffle_down_kernelILj256ELj128ElEvPT1_S1_
	.globl	_Z19shuffle_down_kernelILj256ELj128ElEvPT1_S1_
	.p2align	8
	.type	_Z19shuffle_down_kernelILj256ELj128ElEvPT1_S1_,@function
_Z19shuffle_down_kernelILj256ELj128ElEvPT1_S1_: ; @_Z19shuffle_down_kernelILj256ELj128ElEvPT1_S1_
; %bb.0:
	s_load_b128 s[0:3], s[0:1], 0x0
	v_dual_mov_b32 v2, 0 :: v_dual_lshlrev_b32 v1, 7, v0
	v_lshlrev_b32_e32 v3, 3, v0
	s_delay_alu instid0(VALU_DEP_2) | instskip(NEXT) | instid1(VALU_DEP_1)
	v_lshl_or_b32 v1, ttmp9, 15, v1
	v_lshlrev_b64_e32 v[1:2], 3, v[1:2]
	s_wait_kmcnt 0x0
	s_delay_alu instid0(VALU_DEP_1) | instskip(NEXT) | instid1(VALU_DEP_1)
	v_add_co_u32 v8, vcc_lo, s0, v1
	v_add_co_ci_u32_e64 v9, null, s1, v2, vcc_lo
	v_add_co_u32 v1, vcc_lo, s2, v1
	s_wait_alu 0xfffd
	v_add_co_ci_u32_e64 v2, null, s3, v2, vcc_lo
	global_load_b128 v[4:7], v[8:9], off
	s_mov_b32 s0, exec_lo
	s_wait_loadcnt 0x0
	global_store_b64 v[1:2], v[6:7], off
	global_load_b64 v[6:7], v[8:9], off offset:16
	ds_store_b64 v3, v[4:5]
	s_wait_loadcnt 0x0
	global_store_b64 v[1:2], v[6:7], off offset:8
	global_load_b64 v[6:7], v[8:9], off offset:24
	s_wait_loadcnt 0x0
	global_store_b64 v[1:2], v[6:7], off offset:16
	global_load_b64 v[6:7], v[8:9], off offset:32
	;; [unrolled: 3-line block ×125, first 2 shown]
	s_wait_loadcnt 0x0
	global_store_b64 v[1:2], v[6:7], off offset:1008
	s_wait_storecnt_dscnt 0x0
	s_barrier_signal -1
	s_barrier_wait -1
	global_inv scope:SCOPE_SE
	v_cmpx_gt_u32_e32 0xff, v0
	s_cbranch_execz .LBB55_2
; %bb.1:
	ds_load_b64 v[3:4], v3 offset:8
	s_wait_dscnt 0x0
	global_store_b64 v[1:2], v[3:4], off offset:1016
.LBB55_2:
	s_endpgm
	.section	.rodata,"a",@progbits
	.p2align	6, 0x0
	.amdhsa_kernel _Z19shuffle_down_kernelILj256ELj128ElEvPT1_S1_
		.amdhsa_group_segment_fixed_size 2048
		.amdhsa_private_segment_fixed_size 0
		.amdhsa_kernarg_size 16
		.amdhsa_user_sgpr_count 2
		.amdhsa_user_sgpr_dispatch_ptr 0
		.amdhsa_user_sgpr_queue_ptr 0
		.amdhsa_user_sgpr_kernarg_segment_ptr 1
		.amdhsa_user_sgpr_dispatch_id 0
		.amdhsa_user_sgpr_private_segment_size 0
		.amdhsa_wavefront_size32 1
		.amdhsa_uses_dynamic_stack 0
		.amdhsa_enable_private_segment 0
		.amdhsa_system_sgpr_workgroup_id_x 1
		.amdhsa_system_sgpr_workgroup_id_y 0
		.amdhsa_system_sgpr_workgroup_id_z 0
		.amdhsa_system_sgpr_workgroup_info 0
		.amdhsa_system_vgpr_workitem_id 0
		.amdhsa_next_free_vgpr 10
		.amdhsa_next_free_sgpr 4
		.amdhsa_reserve_vcc 1
		.amdhsa_float_round_mode_32 0
		.amdhsa_float_round_mode_16_64 0
		.amdhsa_float_denorm_mode_32 3
		.amdhsa_float_denorm_mode_16_64 3
		.amdhsa_fp16_overflow 0
		.amdhsa_workgroup_processor_mode 1
		.amdhsa_memory_ordered 1
		.amdhsa_forward_progress 1
		.amdhsa_inst_pref_size 29
		.amdhsa_round_robin_scheduling 0
		.amdhsa_exception_fp_ieee_invalid_op 0
		.amdhsa_exception_fp_denorm_src 0
		.amdhsa_exception_fp_ieee_div_zero 0
		.amdhsa_exception_fp_ieee_overflow 0
		.amdhsa_exception_fp_ieee_underflow 0
		.amdhsa_exception_fp_ieee_inexact 0
		.amdhsa_exception_int_div_zero 0
	.end_amdhsa_kernel
	.section	.text._Z19shuffle_down_kernelILj256ELj128ElEvPT1_S1_,"axG",@progbits,_Z19shuffle_down_kernelILj256ELj128ElEvPT1_S1_,comdat
.Lfunc_end55:
	.size	_Z19shuffle_down_kernelILj256ELj128ElEvPT1_S1_, .Lfunc_end55-_Z19shuffle_down_kernelILj256ELj128ElEvPT1_S1_
                                        ; -- End function
	.set _Z19shuffle_down_kernelILj256ELj128ElEvPT1_S1_.num_vgpr, 10
	.set _Z19shuffle_down_kernelILj256ELj128ElEvPT1_S1_.num_agpr, 0
	.set _Z19shuffle_down_kernelILj256ELj128ElEvPT1_S1_.numbered_sgpr, 4
	.set _Z19shuffle_down_kernelILj256ELj128ElEvPT1_S1_.num_named_barrier, 0
	.set _Z19shuffle_down_kernelILj256ELj128ElEvPT1_S1_.private_seg_size, 0
	.set _Z19shuffle_down_kernelILj256ELj128ElEvPT1_S1_.uses_vcc, 1
	.set _Z19shuffle_down_kernelILj256ELj128ElEvPT1_S1_.uses_flat_scratch, 0
	.set _Z19shuffle_down_kernelILj256ELj128ElEvPT1_S1_.has_dyn_sized_stack, 0
	.set _Z19shuffle_down_kernelILj256ELj128ElEvPT1_S1_.has_recursion, 0
	.set _Z19shuffle_down_kernelILj256ELj128ElEvPT1_S1_.has_indirect_call, 0
	.section	.AMDGPU.csdata,"",@progbits
; Kernel info:
; codeLenInByte = 3712
; TotalNumSgprs: 6
; NumVgprs: 10
; ScratchSize: 0
; MemoryBound: 1
; FloatMode: 240
; IeeeMode: 1
; LDSByteSize: 2048 bytes/workgroup (compile time only)
; SGPRBlocks: 0
; VGPRBlocks: 1
; NumSGPRsForWavesPerEU: 6
; NumVGPRsForWavesPerEU: 10
; Occupancy: 16
; WaveLimiterHint : 1
; COMPUTE_PGM_RSRC2:SCRATCH_EN: 0
; COMPUTE_PGM_RSRC2:USER_SGPR: 2
; COMPUTE_PGM_RSRC2:TRAP_HANDLER: 0
; COMPUTE_PGM_RSRC2:TGID_X_EN: 1
; COMPUTE_PGM_RSRC2:TGID_Y_EN: 0
; COMPUTE_PGM_RSRC2:TGID_Z_EN: 0
; COMPUTE_PGM_RSRC2:TIDIG_COMP_CNT: 0
	.section	.text._Z19shuffle_down_kernelILj64ELj128ElEvPT1_S1_,"axG",@progbits,_Z19shuffle_down_kernelILj64ELj128ElEvPT1_S1_,comdat
	.protected	_Z19shuffle_down_kernelILj64ELj128ElEvPT1_S1_ ; -- Begin function _Z19shuffle_down_kernelILj64ELj128ElEvPT1_S1_
	.globl	_Z19shuffle_down_kernelILj64ELj128ElEvPT1_S1_
	.p2align	8
	.type	_Z19shuffle_down_kernelILj64ELj128ElEvPT1_S1_,@function
_Z19shuffle_down_kernelILj64ELj128ElEvPT1_S1_: ; @_Z19shuffle_down_kernelILj64ELj128ElEvPT1_S1_
; %bb.0:
	s_load_b128 s[0:3], s[0:1], 0x0
	v_dual_mov_b32 v2, 0 :: v_dual_lshlrev_b32 v1, 7, v0
	v_lshlrev_b32_e32 v3, 3, v0
	s_delay_alu instid0(VALU_DEP_2) | instskip(NEXT) | instid1(VALU_DEP_1)
	v_lshl_or_b32 v1, ttmp9, 13, v1
	v_lshlrev_b64_e32 v[1:2], 3, v[1:2]
	s_wait_kmcnt 0x0
	s_delay_alu instid0(VALU_DEP_1) | instskip(NEXT) | instid1(VALU_DEP_1)
	v_add_co_u32 v8, vcc_lo, s0, v1
	v_add_co_ci_u32_e64 v9, null, s1, v2, vcc_lo
	v_add_co_u32 v1, vcc_lo, s2, v1
	s_wait_alu 0xfffd
	v_add_co_ci_u32_e64 v2, null, s3, v2, vcc_lo
	global_load_b128 v[4:7], v[8:9], off
	s_mov_b32 s0, exec_lo
	s_wait_loadcnt 0x0
	global_store_b64 v[1:2], v[6:7], off
	global_load_b64 v[6:7], v[8:9], off offset:16
	ds_store_b64 v3, v[4:5]
	s_wait_loadcnt 0x0
	global_store_b64 v[1:2], v[6:7], off offset:8
	global_load_b64 v[6:7], v[8:9], off offset:24
	s_wait_loadcnt 0x0
	global_store_b64 v[1:2], v[6:7], off offset:16
	global_load_b64 v[6:7], v[8:9], off offset:32
	;; [unrolled: 3-line block ×125, first 2 shown]
	s_wait_loadcnt 0x0
	global_store_b64 v[1:2], v[6:7], off offset:1008
	s_wait_storecnt_dscnt 0x0
	s_barrier_signal -1
	s_barrier_wait -1
	global_inv scope:SCOPE_SE
	v_cmpx_gt_u32_e32 63, v0
	s_cbranch_execz .LBB56_2
; %bb.1:
	ds_load_b64 v[3:4], v3 offset:8
	s_wait_dscnt 0x0
	global_store_b64 v[1:2], v[3:4], off offset:1016
.LBB56_2:
	s_endpgm
	.section	.rodata,"a",@progbits
	.p2align	6, 0x0
	.amdhsa_kernel _Z19shuffle_down_kernelILj64ELj128ElEvPT1_S1_
		.amdhsa_group_segment_fixed_size 512
		.amdhsa_private_segment_fixed_size 0
		.amdhsa_kernarg_size 16
		.amdhsa_user_sgpr_count 2
		.amdhsa_user_sgpr_dispatch_ptr 0
		.amdhsa_user_sgpr_queue_ptr 0
		.amdhsa_user_sgpr_kernarg_segment_ptr 1
		.amdhsa_user_sgpr_dispatch_id 0
		.amdhsa_user_sgpr_private_segment_size 0
		.amdhsa_wavefront_size32 1
		.amdhsa_uses_dynamic_stack 0
		.amdhsa_enable_private_segment 0
		.amdhsa_system_sgpr_workgroup_id_x 1
		.amdhsa_system_sgpr_workgroup_id_y 0
		.amdhsa_system_sgpr_workgroup_id_z 0
		.amdhsa_system_sgpr_workgroup_info 0
		.amdhsa_system_vgpr_workitem_id 0
		.amdhsa_next_free_vgpr 10
		.amdhsa_next_free_sgpr 4
		.amdhsa_reserve_vcc 1
		.amdhsa_float_round_mode_32 0
		.amdhsa_float_round_mode_16_64 0
		.amdhsa_float_denorm_mode_32 3
		.amdhsa_float_denorm_mode_16_64 3
		.amdhsa_fp16_overflow 0
		.amdhsa_workgroup_processor_mode 1
		.amdhsa_memory_ordered 1
		.amdhsa_forward_progress 1
		.amdhsa_inst_pref_size 29
		.amdhsa_round_robin_scheduling 0
		.amdhsa_exception_fp_ieee_invalid_op 0
		.amdhsa_exception_fp_denorm_src 0
		.amdhsa_exception_fp_ieee_div_zero 0
		.amdhsa_exception_fp_ieee_overflow 0
		.amdhsa_exception_fp_ieee_underflow 0
		.amdhsa_exception_fp_ieee_inexact 0
		.amdhsa_exception_int_div_zero 0
	.end_amdhsa_kernel
	.section	.text._Z19shuffle_down_kernelILj64ELj128ElEvPT1_S1_,"axG",@progbits,_Z19shuffle_down_kernelILj64ELj128ElEvPT1_S1_,comdat
.Lfunc_end56:
	.size	_Z19shuffle_down_kernelILj64ELj128ElEvPT1_S1_, .Lfunc_end56-_Z19shuffle_down_kernelILj64ELj128ElEvPT1_S1_
                                        ; -- End function
	.set _Z19shuffle_down_kernelILj64ELj128ElEvPT1_S1_.num_vgpr, 10
	.set _Z19shuffle_down_kernelILj64ELj128ElEvPT1_S1_.num_agpr, 0
	.set _Z19shuffle_down_kernelILj64ELj128ElEvPT1_S1_.numbered_sgpr, 4
	.set _Z19shuffle_down_kernelILj64ELj128ElEvPT1_S1_.num_named_barrier, 0
	.set _Z19shuffle_down_kernelILj64ELj128ElEvPT1_S1_.private_seg_size, 0
	.set _Z19shuffle_down_kernelILj64ELj128ElEvPT1_S1_.uses_vcc, 1
	.set _Z19shuffle_down_kernelILj64ELj128ElEvPT1_S1_.uses_flat_scratch, 0
	.set _Z19shuffle_down_kernelILj64ELj128ElEvPT1_S1_.has_dyn_sized_stack, 0
	.set _Z19shuffle_down_kernelILj64ELj128ElEvPT1_S1_.has_recursion, 0
	.set _Z19shuffle_down_kernelILj64ELj128ElEvPT1_S1_.has_indirect_call, 0
	.section	.AMDGPU.csdata,"",@progbits
; Kernel info:
; codeLenInByte = 3708
; TotalNumSgprs: 6
; NumVgprs: 10
; ScratchSize: 0
; MemoryBound: 1
; FloatMode: 240
; IeeeMode: 1
; LDSByteSize: 512 bytes/workgroup (compile time only)
; SGPRBlocks: 0
; VGPRBlocks: 1
; NumSGPRsForWavesPerEU: 6
; NumVGPRsForWavesPerEU: 10
; Occupancy: 16
; WaveLimiterHint : 1
; COMPUTE_PGM_RSRC2:SCRATCH_EN: 0
; COMPUTE_PGM_RSRC2:USER_SGPR: 2
; COMPUTE_PGM_RSRC2:TRAP_HANDLER: 0
; COMPUTE_PGM_RSRC2:TGID_X_EN: 1
; COMPUTE_PGM_RSRC2:TGID_Y_EN: 0
; COMPUTE_PGM_RSRC2:TGID_Z_EN: 0
; COMPUTE_PGM_RSRC2:TIDIG_COMP_CNT: 0
	.section	.text._Z19shuffle_down_kernelILj377ELj128EjEvPT1_S1_,"axG",@progbits,_Z19shuffle_down_kernelILj377ELj128EjEvPT1_S1_,comdat
	.protected	_Z19shuffle_down_kernelILj377ELj128EjEvPT1_S1_ ; -- Begin function _Z19shuffle_down_kernelILj377ELj128EjEvPT1_S1_
	.globl	_Z19shuffle_down_kernelILj377ELj128EjEvPT1_S1_
	.p2align	8
	.type	_Z19shuffle_down_kernelILj377ELj128EjEvPT1_S1_,@function
_Z19shuffle_down_kernelILj377ELj128EjEvPT1_S1_: ; @_Z19shuffle_down_kernelILj377ELj128EjEvPT1_S1_
; %bb.0:
	s_load_b128 s[0:3], s[0:1], 0x0
	s_mul_i32 s4, ttmp9, 0x179
	v_mov_b32_e32 v2, 0
	v_add_lshl_u32 v1, s4, v0, 7
	s_delay_alu instid0(VALU_DEP_1) | instskip(SKIP_1) | instid1(VALU_DEP_1)
	v_lshlrev_b64_e32 v[1:2], 2, v[1:2]
	s_wait_kmcnt 0x0
	v_add_co_u32 v3, vcc_lo, s0, v1
	s_delay_alu instid0(VALU_DEP_1)
	v_add_co_ci_u32_e64 v4, null, s1, v2, vcc_lo
	v_add_co_u32 v1, vcc_lo, s2, v1
	s_wait_alu 0xfffd
	v_add_co_ci_u32_e64 v2, null, s3, v2, vcc_lo
	global_load_b64 v[5:6], v[3:4], off
	s_mov_b32 s0, exec_lo
	s_wait_loadcnt 0x0
	global_store_b32 v[1:2], v6, off
	global_load_b32 v6, v[3:4], off offset:8
	s_wait_loadcnt 0x0
	global_store_b32 v[1:2], v6, off offset:4
	global_load_b32 v6, v[3:4], off offset:12
	s_wait_loadcnt 0x0
	global_store_b32 v[1:2], v6, off offset:8
	;; [unrolled: 3-line block ×125, first 2 shown]
	global_load_b32 v4, v[3:4], off offset:508
	v_lshlrev_b32_e32 v3, 2, v0
	ds_store_b32 v3, v5
	s_wait_loadcnt 0x0
	global_store_b32 v[1:2], v4, off offset:504
	s_wait_storecnt_dscnt 0x0
	s_barrier_signal -1
	s_barrier_wait -1
	global_inv scope:SCOPE_SE
	v_cmpx_gt_u32_e32 0x178, v0
	s_cbranch_execz .LBB57_2
; %bb.1:
	ds_load_b32 v0, v3 offset:4
	s_wait_dscnt 0x0
	global_store_b32 v[1:2], v0, off offset:508
.LBB57_2:
	s_endpgm
	.section	.rodata,"a",@progbits
	.p2align	6, 0x0
	.amdhsa_kernel _Z19shuffle_down_kernelILj377ELj128EjEvPT1_S1_
		.amdhsa_group_segment_fixed_size 1508
		.amdhsa_private_segment_fixed_size 0
		.amdhsa_kernarg_size 16
		.amdhsa_user_sgpr_count 2
		.amdhsa_user_sgpr_dispatch_ptr 0
		.amdhsa_user_sgpr_queue_ptr 0
		.amdhsa_user_sgpr_kernarg_segment_ptr 1
		.amdhsa_user_sgpr_dispatch_id 0
		.amdhsa_user_sgpr_private_segment_size 0
		.amdhsa_wavefront_size32 1
		.amdhsa_uses_dynamic_stack 0
		.amdhsa_enable_private_segment 0
		.amdhsa_system_sgpr_workgroup_id_x 1
		.amdhsa_system_sgpr_workgroup_id_y 0
		.amdhsa_system_sgpr_workgroup_id_z 0
		.amdhsa_system_sgpr_workgroup_info 0
		.amdhsa_system_vgpr_workitem_id 0
		.amdhsa_next_free_vgpr 7
		.amdhsa_next_free_sgpr 5
		.amdhsa_reserve_vcc 1
		.amdhsa_float_round_mode_32 0
		.amdhsa_float_round_mode_16_64 0
		.amdhsa_float_denorm_mode_32 3
		.amdhsa_float_denorm_mode_16_64 3
		.amdhsa_fp16_overflow 0
		.amdhsa_workgroup_processor_mode 1
		.amdhsa_memory_ordered 1
		.amdhsa_forward_progress 1
		.amdhsa_inst_pref_size 30
		.amdhsa_round_robin_scheduling 0
		.amdhsa_exception_fp_ieee_invalid_op 0
		.amdhsa_exception_fp_denorm_src 0
		.amdhsa_exception_fp_ieee_div_zero 0
		.amdhsa_exception_fp_ieee_overflow 0
		.amdhsa_exception_fp_ieee_underflow 0
		.amdhsa_exception_fp_ieee_inexact 0
		.amdhsa_exception_int_div_zero 0
	.end_amdhsa_kernel
	.section	.text._Z19shuffle_down_kernelILj377ELj128EjEvPT1_S1_,"axG",@progbits,_Z19shuffle_down_kernelILj377ELj128EjEvPT1_S1_,comdat
.Lfunc_end57:
	.size	_Z19shuffle_down_kernelILj377ELj128EjEvPT1_S1_, .Lfunc_end57-_Z19shuffle_down_kernelILj377ELj128EjEvPT1_S1_
                                        ; -- End function
	.set _Z19shuffle_down_kernelILj377ELj128EjEvPT1_S1_.num_vgpr, 7
	.set _Z19shuffle_down_kernelILj377ELj128EjEvPT1_S1_.num_agpr, 0
	.set _Z19shuffle_down_kernelILj377ELj128EjEvPT1_S1_.numbered_sgpr, 5
	.set _Z19shuffle_down_kernelILj377ELj128EjEvPT1_S1_.num_named_barrier, 0
	.set _Z19shuffle_down_kernelILj377ELj128EjEvPT1_S1_.private_seg_size, 0
	.set _Z19shuffle_down_kernelILj377ELj128EjEvPT1_S1_.uses_vcc, 1
	.set _Z19shuffle_down_kernelILj377ELj128EjEvPT1_S1_.uses_flat_scratch, 0
	.set _Z19shuffle_down_kernelILj377ELj128EjEvPT1_S1_.has_dyn_sized_stack, 0
	.set _Z19shuffle_down_kernelILj377ELj128EjEvPT1_S1_.has_recursion, 0
	.set _Z19shuffle_down_kernelILj377ELj128EjEvPT1_S1_.has_indirect_call, 0
	.section	.AMDGPU.csdata,"",@progbits
; Kernel info:
; codeLenInByte = 3716
; TotalNumSgprs: 7
; NumVgprs: 7
; ScratchSize: 0
; MemoryBound: 1
; FloatMode: 240
; IeeeMode: 1
; LDSByteSize: 1508 bytes/workgroup (compile time only)
; SGPRBlocks: 0
; VGPRBlocks: 0
; NumSGPRsForWavesPerEU: 7
; NumVGPRsForWavesPerEU: 7
; Occupancy: 16
; WaveLimiterHint : 1
; COMPUTE_PGM_RSRC2:SCRATCH_EN: 0
; COMPUTE_PGM_RSRC2:USER_SGPR: 2
; COMPUTE_PGM_RSRC2:TRAP_HANDLER: 0
; COMPUTE_PGM_RSRC2:TGID_X_EN: 1
; COMPUTE_PGM_RSRC2:TGID_Y_EN: 0
; COMPUTE_PGM_RSRC2:TGID_Z_EN: 0
; COMPUTE_PGM_RSRC2:TIDIG_COMP_CNT: 0
	.section	.text._Z19shuffle_down_kernelILj256ELj128EjEvPT1_S1_,"axG",@progbits,_Z19shuffle_down_kernelILj256ELj128EjEvPT1_S1_,comdat
	.protected	_Z19shuffle_down_kernelILj256ELj128EjEvPT1_S1_ ; -- Begin function _Z19shuffle_down_kernelILj256ELj128EjEvPT1_S1_
	.globl	_Z19shuffle_down_kernelILj256ELj128EjEvPT1_S1_
	.p2align	8
	.type	_Z19shuffle_down_kernelILj256ELj128EjEvPT1_S1_,@function
_Z19shuffle_down_kernelILj256ELj128EjEvPT1_S1_: ; @_Z19shuffle_down_kernelILj256ELj128EjEvPT1_S1_
; %bb.0:
	s_load_b128 s[0:3], s[0:1], 0x0
	v_dual_mov_b32 v2, 0 :: v_dual_lshlrev_b32 v1, 7, v0
	s_delay_alu instid0(VALU_DEP_1) | instskip(NEXT) | instid1(VALU_DEP_1)
	v_lshl_or_b32 v1, ttmp9, 15, v1
	v_lshlrev_b64_e32 v[1:2], 2, v[1:2]
	s_wait_kmcnt 0x0
	s_delay_alu instid0(VALU_DEP_1) | instskip(NEXT) | instid1(VALU_DEP_1)
	v_add_co_u32 v3, vcc_lo, s0, v1
	v_add_co_ci_u32_e64 v4, null, s1, v2, vcc_lo
	v_add_co_u32 v1, vcc_lo, s2, v1
	s_wait_alu 0xfffd
	v_add_co_ci_u32_e64 v2, null, s3, v2, vcc_lo
	global_load_b64 v[5:6], v[3:4], off
	s_mov_b32 s0, exec_lo
	s_wait_loadcnt 0x0
	global_store_b32 v[1:2], v6, off
	global_load_b32 v6, v[3:4], off offset:8
	s_wait_loadcnt 0x0
	global_store_b32 v[1:2], v6, off offset:4
	global_load_b32 v6, v[3:4], off offset:12
	s_wait_loadcnt 0x0
	global_store_b32 v[1:2], v6, off offset:8
	;; [unrolled: 3-line block ×125, first 2 shown]
	global_load_b32 v4, v[3:4], off offset:508
	v_lshlrev_b32_e32 v3, 2, v0
	ds_store_b32 v3, v5
	s_wait_loadcnt 0x0
	global_store_b32 v[1:2], v4, off offset:504
	s_wait_storecnt_dscnt 0x0
	s_barrier_signal -1
	s_barrier_wait -1
	global_inv scope:SCOPE_SE
	v_cmpx_gt_u32_e32 0xff, v0
	s_cbranch_execz .LBB58_2
; %bb.1:
	ds_load_b32 v0, v3 offset:4
	s_wait_dscnt 0x0
	global_store_b32 v[1:2], v0, off offset:508
.LBB58_2:
	s_endpgm
	.section	.rodata,"a",@progbits
	.p2align	6, 0x0
	.amdhsa_kernel _Z19shuffle_down_kernelILj256ELj128EjEvPT1_S1_
		.amdhsa_group_segment_fixed_size 1024
		.amdhsa_private_segment_fixed_size 0
		.amdhsa_kernarg_size 16
		.amdhsa_user_sgpr_count 2
		.amdhsa_user_sgpr_dispatch_ptr 0
		.amdhsa_user_sgpr_queue_ptr 0
		.amdhsa_user_sgpr_kernarg_segment_ptr 1
		.amdhsa_user_sgpr_dispatch_id 0
		.amdhsa_user_sgpr_private_segment_size 0
		.amdhsa_wavefront_size32 1
		.amdhsa_uses_dynamic_stack 0
		.amdhsa_enable_private_segment 0
		.amdhsa_system_sgpr_workgroup_id_x 1
		.amdhsa_system_sgpr_workgroup_id_y 0
		.amdhsa_system_sgpr_workgroup_id_z 0
		.amdhsa_system_sgpr_workgroup_info 0
		.amdhsa_system_vgpr_workitem_id 0
		.amdhsa_next_free_vgpr 7
		.amdhsa_next_free_sgpr 4
		.amdhsa_reserve_vcc 1
		.amdhsa_float_round_mode_32 0
		.amdhsa_float_round_mode_16_64 0
		.amdhsa_float_denorm_mode_32 3
		.amdhsa_float_denorm_mode_16_64 3
		.amdhsa_fp16_overflow 0
		.amdhsa_workgroup_processor_mode 1
		.amdhsa_memory_ordered 1
		.amdhsa_forward_progress 1
		.amdhsa_inst_pref_size 29
		.amdhsa_round_robin_scheduling 0
		.amdhsa_exception_fp_ieee_invalid_op 0
		.amdhsa_exception_fp_denorm_src 0
		.amdhsa_exception_fp_ieee_div_zero 0
		.amdhsa_exception_fp_ieee_overflow 0
		.amdhsa_exception_fp_ieee_underflow 0
		.amdhsa_exception_fp_ieee_inexact 0
		.amdhsa_exception_int_div_zero 0
	.end_amdhsa_kernel
	.section	.text._Z19shuffle_down_kernelILj256ELj128EjEvPT1_S1_,"axG",@progbits,_Z19shuffle_down_kernelILj256ELj128EjEvPT1_S1_,comdat
.Lfunc_end58:
	.size	_Z19shuffle_down_kernelILj256ELj128EjEvPT1_S1_, .Lfunc_end58-_Z19shuffle_down_kernelILj256ELj128EjEvPT1_S1_
                                        ; -- End function
	.set _Z19shuffle_down_kernelILj256ELj128EjEvPT1_S1_.num_vgpr, 7
	.set _Z19shuffle_down_kernelILj256ELj128EjEvPT1_S1_.num_agpr, 0
	.set _Z19shuffle_down_kernelILj256ELj128EjEvPT1_S1_.numbered_sgpr, 4
	.set _Z19shuffle_down_kernelILj256ELj128EjEvPT1_S1_.num_named_barrier, 0
	.set _Z19shuffle_down_kernelILj256ELj128EjEvPT1_S1_.private_seg_size, 0
	.set _Z19shuffle_down_kernelILj256ELj128EjEvPT1_S1_.uses_vcc, 1
	.set _Z19shuffle_down_kernelILj256ELj128EjEvPT1_S1_.uses_flat_scratch, 0
	.set _Z19shuffle_down_kernelILj256ELj128EjEvPT1_S1_.has_dyn_sized_stack, 0
	.set _Z19shuffle_down_kernelILj256ELj128EjEvPT1_S1_.has_recursion, 0
	.set _Z19shuffle_down_kernelILj256ELj128EjEvPT1_S1_.has_indirect_call, 0
	.section	.AMDGPU.csdata,"",@progbits
; Kernel info:
; codeLenInByte = 3712
; TotalNumSgprs: 6
; NumVgprs: 7
; ScratchSize: 0
; MemoryBound: 1
; FloatMode: 240
; IeeeMode: 1
; LDSByteSize: 1024 bytes/workgroup (compile time only)
; SGPRBlocks: 0
; VGPRBlocks: 0
; NumSGPRsForWavesPerEU: 6
; NumVGPRsForWavesPerEU: 7
; Occupancy: 16
; WaveLimiterHint : 1
; COMPUTE_PGM_RSRC2:SCRATCH_EN: 0
; COMPUTE_PGM_RSRC2:USER_SGPR: 2
; COMPUTE_PGM_RSRC2:TRAP_HANDLER: 0
; COMPUTE_PGM_RSRC2:TGID_X_EN: 1
; COMPUTE_PGM_RSRC2:TGID_Y_EN: 0
; COMPUTE_PGM_RSRC2:TGID_Z_EN: 0
; COMPUTE_PGM_RSRC2:TIDIG_COMP_CNT: 0
	.section	.text._Z19shuffle_down_kernelILj64ELj128EjEvPT1_S1_,"axG",@progbits,_Z19shuffle_down_kernelILj64ELj128EjEvPT1_S1_,comdat
	.protected	_Z19shuffle_down_kernelILj64ELj128EjEvPT1_S1_ ; -- Begin function _Z19shuffle_down_kernelILj64ELj128EjEvPT1_S1_
	.globl	_Z19shuffle_down_kernelILj64ELj128EjEvPT1_S1_
	.p2align	8
	.type	_Z19shuffle_down_kernelILj64ELj128EjEvPT1_S1_,@function
_Z19shuffle_down_kernelILj64ELj128EjEvPT1_S1_: ; @_Z19shuffle_down_kernelILj64ELj128EjEvPT1_S1_
; %bb.0:
	s_load_b128 s[0:3], s[0:1], 0x0
	v_dual_mov_b32 v2, 0 :: v_dual_lshlrev_b32 v1, 7, v0
	s_delay_alu instid0(VALU_DEP_1) | instskip(NEXT) | instid1(VALU_DEP_1)
	v_lshl_or_b32 v1, ttmp9, 13, v1
	v_lshlrev_b64_e32 v[1:2], 2, v[1:2]
	s_wait_kmcnt 0x0
	s_delay_alu instid0(VALU_DEP_1) | instskip(NEXT) | instid1(VALU_DEP_1)
	v_add_co_u32 v3, vcc_lo, s0, v1
	v_add_co_ci_u32_e64 v4, null, s1, v2, vcc_lo
	v_add_co_u32 v1, vcc_lo, s2, v1
	s_wait_alu 0xfffd
	v_add_co_ci_u32_e64 v2, null, s3, v2, vcc_lo
	global_load_b64 v[5:6], v[3:4], off
	s_mov_b32 s0, exec_lo
	s_wait_loadcnt 0x0
	global_store_b32 v[1:2], v6, off
	global_load_b32 v6, v[3:4], off offset:8
	s_wait_loadcnt 0x0
	global_store_b32 v[1:2], v6, off offset:4
	global_load_b32 v6, v[3:4], off offset:12
	s_wait_loadcnt 0x0
	global_store_b32 v[1:2], v6, off offset:8
	;; [unrolled: 3-line block ×125, first 2 shown]
	global_load_b32 v4, v[3:4], off offset:508
	v_lshlrev_b32_e32 v3, 2, v0
	ds_store_b32 v3, v5
	s_wait_loadcnt 0x0
	global_store_b32 v[1:2], v4, off offset:504
	s_wait_storecnt_dscnt 0x0
	s_barrier_signal -1
	s_barrier_wait -1
	global_inv scope:SCOPE_SE
	v_cmpx_gt_u32_e32 63, v0
	s_cbranch_execz .LBB59_2
; %bb.1:
	ds_load_b32 v0, v3 offset:4
	s_wait_dscnt 0x0
	global_store_b32 v[1:2], v0, off offset:508
.LBB59_2:
	s_endpgm
	.section	.rodata,"a",@progbits
	.p2align	6, 0x0
	.amdhsa_kernel _Z19shuffle_down_kernelILj64ELj128EjEvPT1_S1_
		.amdhsa_group_segment_fixed_size 256
		.amdhsa_private_segment_fixed_size 0
		.amdhsa_kernarg_size 16
		.amdhsa_user_sgpr_count 2
		.amdhsa_user_sgpr_dispatch_ptr 0
		.amdhsa_user_sgpr_queue_ptr 0
		.amdhsa_user_sgpr_kernarg_segment_ptr 1
		.amdhsa_user_sgpr_dispatch_id 0
		.amdhsa_user_sgpr_private_segment_size 0
		.amdhsa_wavefront_size32 1
		.amdhsa_uses_dynamic_stack 0
		.amdhsa_enable_private_segment 0
		.amdhsa_system_sgpr_workgroup_id_x 1
		.amdhsa_system_sgpr_workgroup_id_y 0
		.amdhsa_system_sgpr_workgroup_id_z 0
		.amdhsa_system_sgpr_workgroup_info 0
		.amdhsa_system_vgpr_workitem_id 0
		.amdhsa_next_free_vgpr 7
		.amdhsa_next_free_sgpr 4
		.amdhsa_reserve_vcc 1
		.amdhsa_float_round_mode_32 0
		.amdhsa_float_round_mode_16_64 0
		.amdhsa_float_denorm_mode_32 3
		.amdhsa_float_denorm_mode_16_64 3
		.amdhsa_fp16_overflow 0
		.amdhsa_workgroup_processor_mode 1
		.amdhsa_memory_ordered 1
		.amdhsa_forward_progress 1
		.amdhsa_inst_pref_size 29
		.amdhsa_round_robin_scheduling 0
		.amdhsa_exception_fp_ieee_invalid_op 0
		.amdhsa_exception_fp_denorm_src 0
		.amdhsa_exception_fp_ieee_div_zero 0
		.amdhsa_exception_fp_ieee_overflow 0
		.amdhsa_exception_fp_ieee_underflow 0
		.amdhsa_exception_fp_ieee_inexact 0
		.amdhsa_exception_int_div_zero 0
	.end_amdhsa_kernel
	.section	.text._Z19shuffle_down_kernelILj64ELj128EjEvPT1_S1_,"axG",@progbits,_Z19shuffle_down_kernelILj64ELj128EjEvPT1_S1_,comdat
.Lfunc_end59:
	.size	_Z19shuffle_down_kernelILj64ELj128EjEvPT1_S1_, .Lfunc_end59-_Z19shuffle_down_kernelILj64ELj128EjEvPT1_S1_
                                        ; -- End function
	.set _Z19shuffle_down_kernelILj64ELj128EjEvPT1_S1_.num_vgpr, 7
	.set _Z19shuffle_down_kernelILj64ELj128EjEvPT1_S1_.num_agpr, 0
	.set _Z19shuffle_down_kernelILj64ELj128EjEvPT1_S1_.numbered_sgpr, 4
	.set _Z19shuffle_down_kernelILj64ELj128EjEvPT1_S1_.num_named_barrier, 0
	.set _Z19shuffle_down_kernelILj64ELj128EjEvPT1_S1_.private_seg_size, 0
	.set _Z19shuffle_down_kernelILj64ELj128EjEvPT1_S1_.uses_vcc, 1
	.set _Z19shuffle_down_kernelILj64ELj128EjEvPT1_S1_.uses_flat_scratch, 0
	.set _Z19shuffle_down_kernelILj64ELj128EjEvPT1_S1_.has_dyn_sized_stack, 0
	.set _Z19shuffle_down_kernelILj64ELj128EjEvPT1_S1_.has_recursion, 0
	.set _Z19shuffle_down_kernelILj64ELj128EjEvPT1_S1_.has_indirect_call, 0
	.section	.AMDGPU.csdata,"",@progbits
; Kernel info:
; codeLenInByte = 3708
; TotalNumSgprs: 6
; NumVgprs: 7
; ScratchSize: 0
; MemoryBound: 1
; FloatMode: 240
; IeeeMode: 1
; LDSByteSize: 256 bytes/workgroup (compile time only)
; SGPRBlocks: 0
; VGPRBlocks: 0
; NumSGPRsForWavesPerEU: 6
; NumVGPRsForWavesPerEU: 7
; Occupancy: 16
; WaveLimiterHint : 1
; COMPUTE_PGM_RSRC2:SCRATCH_EN: 0
; COMPUTE_PGM_RSRC2:USER_SGPR: 2
; COMPUTE_PGM_RSRC2:TRAP_HANDLER: 0
; COMPUTE_PGM_RSRC2:TGID_X_EN: 1
; COMPUTE_PGM_RSRC2:TGID_Y_EN: 0
; COMPUTE_PGM_RSRC2:TGID_Z_EN: 0
; COMPUTE_PGM_RSRC2:TIDIG_COMP_CNT: 0
	.section	.text._Z19shuffle_down_kernelILj255ELj128EiEvPT1_S1_,"axG",@progbits,_Z19shuffle_down_kernelILj255ELj128EiEvPT1_S1_,comdat
	.protected	_Z19shuffle_down_kernelILj255ELj128EiEvPT1_S1_ ; -- Begin function _Z19shuffle_down_kernelILj255ELj128EiEvPT1_S1_
	.globl	_Z19shuffle_down_kernelILj255ELj128EiEvPT1_S1_
	.p2align	8
	.type	_Z19shuffle_down_kernelILj255ELj128EiEvPT1_S1_,@function
_Z19shuffle_down_kernelILj255ELj128EiEvPT1_S1_: ; @_Z19shuffle_down_kernelILj255ELj128EiEvPT1_S1_
; %bb.0:
	s_load_b128 s[0:3], s[0:1], 0x0
	s_mul_i32 s4, ttmp9, 0xff
	v_mov_b32_e32 v2, 0
	v_add_lshl_u32 v1, s4, v0, 7
	s_delay_alu instid0(VALU_DEP_1) | instskip(SKIP_1) | instid1(VALU_DEP_1)
	v_lshlrev_b64_e32 v[1:2], 2, v[1:2]
	s_wait_kmcnt 0x0
	v_add_co_u32 v3, vcc_lo, s0, v1
	s_delay_alu instid0(VALU_DEP_1)
	v_add_co_ci_u32_e64 v4, null, s1, v2, vcc_lo
	v_add_co_u32 v1, vcc_lo, s2, v1
	s_wait_alu 0xfffd
	v_add_co_ci_u32_e64 v2, null, s3, v2, vcc_lo
	global_load_b64 v[5:6], v[3:4], off
	s_mov_b32 s0, exec_lo
	s_wait_loadcnt 0x0
	global_store_b32 v[1:2], v6, off
	global_load_b32 v6, v[3:4], off offset:8
	s_wait_loadcnt 0x0
	global_store_b32 v[1:2], v6, off offset:4
	global_load_b32 v6, v[3:4], off offset:12
	s_wait_loadcnt 0x0
	global_store_b32 v[1:2], v6, off offset:8
	;; [unrolled: 3-line block ×125, first 2 shown]
	global_load_b32 v4, v[3:4], off offset:508
	v_lshlrev_b32_e32 v3, 2, v0
	ds_store_b32 v3, v5
	s_wait_loadcnt 0x0
	global_store_b32 v[1:2], v4, off offset:504
	s_wait_storecnt_dscnt 0x0
	s_barrier_signal -1
	s_barrier_wait -1
	global_inv scope:SCOPE_SE
	v_cmpx_gt_u32_e32 0xfe, v0
	s_cbranch_execz .LBB60_2
; %bb.1:
	ds_load_b32 v0, v3 offset:4
	s_wait_dscnt 0x0
	global_store_b32 v[1:2], v0, off offset:508
.LBB60_2:
	s_endpgm
	.section	.rodata,"a",@progbits
	.p2align	6, 0x0
	.amdhsa_kernel _Z19shuffle_down_kernelILj255ELj128EiEvPT1_S1_
		.amdhsa_group_segment_fixed_size 1020
		.amdhsa_private_segment_fixed_size 0
		.amdhsa_kernarg_size 16
		.amdhsa_user_sgpr_count 2
		.amdhsa_user_sgpr_dispatch_ptr 0
		.amdhsa_user_sgpr_queue_ptr 0
		.amdhsa_user_sgpr_kernarg_segment_ptr 1
		.amdhsa_user_sgpr_dispatch_id 0
		.amdhsa_user_sgpr_private_segment_size 0
		.amdhsa_wavefront_size32 1
		.amdhsa_uses_dynamic_stack 0
		.amdhsa_enable_private_segment 0
		.amdhsa_system_sgpr_workgroup_id_x 1
		.amdhsa_system_sgpr_workgroup_id_y 0
		.amdhsa_system_sgpr_workgroup_id_z 0
		.amdhsa_system_sgpr_workgroup_info 0
		.amdhsa_system_vgpr_workitem_id 0
		.amdhsa_next_free_vgpr 7
		.amdhsa_next_free_sgpr 5
		.amdhsa_reserve_vcc 1
		.amdhsa_float_round_mode_32 0
		.amdhsa_float_round_mode_16_64 0
		.amdhsa_float_denorm_mode_32 3
		.amdhsa_float_denorm_mode_16_64 3
		.amdhsa_fp16_overflow 0
		.amdhsa_workgroup_processor_mode 1
		.amdhsa_memory_ordered 1
		.amdhsa_forward_progress 1
		.amdhsa_inst_pref_size 30
		.amdhsa_round_robin_scheduling 0
		.amdhsa_exception_fp_ieee_invalid_op 0
		.amdhsa_exception_fp_denorm_src 0
		.amdhsa_exception_fp_ieee_div_zero 0
		.amdhsa_exception_fp_ieee_overflow 0
		.amdhsa_exception_fp_ieee_underflow 0
		.amdhsa_exception_fp_ieee_inexact 0
		.amdhsa_exception_int_div_zero 0
	.end_amdhsa_kernel
	.section	.text._Z19shuffle_down_kernelILj255ELj128EiEvPT1_S1_,"axG",@progbits,_Z19shuffle_down_kernelILj255ELj128EiEvPT1_S1_,comdat
.Lfunc_end60:
	.size	_Z19shuffle_down_kernelILj255ELj128EiEvPT1_S1_, .Lfunc_end60-_Z19shuffle_down_kernelILj255ELj128EiEvPT1_S1_
                                        ; -- End function
	.set _Z19shuffle_down_kernelILj255ELj128EiEvPT1_S1_.num_vgpr, 7
	.set _Z19shuffle_down_kernelILj255ELj128EiEvPT1_S1_.num_agpr, 0
	.set _Z19shuffle_down_kernelILj255ELj128EiEvPT1_S1_.numbered_sgpr, 5
	.set _Z19shuffle_down_kernelILj255ELj128EiEvPT1_S1_.num_named_barrier, 0
	.set _Z19shuffle_down_kernelILj255ELj128EiEvPT1_S1_.private_seg_size, 0
	.set _Z19shuffle_down_kernelILj255ELj128EiEvPT1_S1_.uses_vcc, 1
	.set _Z19shuffle_down_kernelILj255ELj128EiEvPT1_S1_.uses_flat_scratch, 0
	.set _Z19shuffle_down_kernelILj255ELj128EiEvPT1_S1_.has_dyn_sized_stack, 0
	.set _Z19shuffle_down_kernelILj255ELj128EiEvPT1_S1_.has_recursion, 0
	.set _Z19shuffle_down_kernelILj255ELj128EiEvPT1_S1_.has_indirect_call, 0
	.section	.AMDGPU.csdata,"",@progbits
; Kernel info:
; codeLenInByte = 3716
; TotalNumSgprs: 7
; NumVgprs: 7
; ScratchSize: 0
; MemoryBound: 1
; FloatMode: 240
; IeeeMode: 1
; LDSByteSize: 1020 bytes/workgroup (compile time only)
; SGPRBlocks: 0
; VGPRBlocks: 0
; NumSGPRsForWavesPerEU: 7
; NumVGPRsForWavesPerEU: 7
; Occupancy: 16
; WaveLimiterHint : 1
; COMPUTE_PGM_RSRC2:SCRATCH_EN: 0
; COMPUTE_PGM_RSRC2:USER_SGPR: 2
; COMPUTE_PGM_RSRC2:TRAP_HANDLER: 0
; COMPUTE_PGM_RSRC2:TGID_X_EN: 1
; COMPUTE_PGM_RSRC2:TGID_Y_EN: 0
; COMPUTE_PGM_RSRC2:TGID_Z_EN: 0
; COMPUTE_PGM_RSRC2:TIDIG_COMP_CNT: 0
	.section	.text._Z19shuffle_down_kernelILj162ELj128EiEvPT1_S1_,"axG",@progbits,_Z19shuffle_down_kernelILj162ELj128EiEvPT1_S1_,comdat
	.protected	_Z19shuffle_down_kernelILj162ELj128EiEvPT1_S1_ ; -- Begin function _Z19shuffle_down_kernelILj162ELj128EiEvPT1_S1_
	.globl	_Z19shuffle_down_kernelILj162ELj128EiEvPT1_S1_
	.p2align	8
	.type	_Z19shuffle_down_kernelILj162ELj128EiEvPT1_S1_,@function
_Z19shuffle_down_kernelILj162ELj128EiEvPT1_S1_: ; @_Z19shuffle_down_kernelILj162ELj128EiEvPT1_S1_
; %bb.0:
	s_load_b128 s[0:3], s[0:1], 0x0
	s_mul_i32 s4, ttmp9, 0xa2
	v_mov_b32_e32 v2, 0
	v_add_lshl_u32 v1, s4, v0, 7
	s_delay_alu instid0(VALU_DEP_1) | instskip(SKIP_1) | instid1(VALU_DEP_1)
	v_lshlrev_b64_e32 v[1:2], 2, v[1:2]
	s_wait_kmcnt 0x0
	v_add_co_u32 v3, vcc_lo, s0, v1
	s_delay_alu instid0(VALU_DEP_1)
	v_add_co_ci_u32_e64 v4, null, s1, v2, vcc_lo
	v_add_co_u32 v1, vcc_lo, s2, v1
	s_wait_alu 0xfffd
	v_add_co_ci_u32_e64 v2, null, s3, v2, vcc_lo
	global_load_b64 v[5:6], v[3:4], off
	s_mov_b32 s0, exec_lo
	s_wait_loadcnt 0x0
	global_store_b32 v[1:2], v6, off
	global_load_b32 v6, v[3:4], off offset:8
	s_wait_loadcnt 0x0
	global_store_b32 v[1:2], v6, off offset:4
	global_load_b32 v6, v[3:4], off offset:12
	s_wait_loadcnt 0x0
	global_store_b32 v[1:2], v6, off offset:8
	;; [unrolled: 3-line block ×125, first 2 shown]
	global_load_b32 v4, v[3:4], off offset:508
	v_lshlrev_b32_e32 v3, 2, v0
	ds_store_b32 v3, v5
	s_wait_loadcnt 0x0
	global_store_b32 v[1:2], v4, off offset:504
	s_wait_storecnt_dscnt 0x0
	s_barrier_signal -1
	s_barrier_wait -1
	global_inv scope:SCOPE_SE
	v_cmpx_gt_u32_e32 0xa1, v0
	s_cbranch_execz .LBB61_2
; %bb.1:
	ds_load_b32 v0, v3 offset:4
	s_wait_dscnt 0x0
	global_store_b32 v[1:2], v0, off offset:508
.LBB61_2:
	s_endpgm
	.section	.rodata,"a",@progbits
	.p2align	6, 0x0
	.amdhsa_kernel _Z19shuffle_down_kernelILj162ELj128EiEvPT1_S1_
		.amdhsa_group_segment_fixed_size 648
		.amdhsa_private_segment_fixed_size 0
		.amdhsa_kernarg_size 16
		.amdhsa_user_sgpr_count 2
		.amdhsa_user_sgpr_dispatch_ptr 0
		.amdhsa_user_sgpr_queue_ptr 0
		.amdhsa_user_sgpr_kernarg_segment_ptr 1
		.amdhsa_user_sgpr_dispatch_id 0
		.amdhsa_user_sgpr_private_segment_size 0
		.amdhsa_wavefront_size32 1
		.amdhsa_uses_dynamic_stack 0
		.amdhsa_enable_private_segment 0
		.amdhsa_system_sgpr_workgroup_id_x 1
		.amdhsa_system_sgpr_workgroup_id_y 0
		.amdhsa_system_sgpr_workgroup_id_z 0
		.amdhsa_system_sgpr_workgroup_info 0
		.amdhsa_system_vgpr_workitem_id 0
		.amdhsa_next_free_vgpr 7
		.amdhsa_next_free_sgpr 5
		.amdhsa_reserve_vcc 1
		.amdhsa_float_round_mode_32 0
		.amdhsa_float_round_mode_16_64 0
		.amdhsa_float_denorm_mode_32 3
		.amdhsa_float_denorm_mode_16_64 3
		.amdhsa_fp16_overflow 0
		.amdhsa_workgroup_processor_mode 1
		.amdhsa_memory_ordered 1
		.amdhsa_forward_progress 1
		.amdhsa_inst_pref_size 30
		.amdhsa_round_robin_scheduling 0
		.amdhsa_exception_fp_ieee_invalid_op 0
		.amdhsa_exception_fp_denorm_src 0
		.amdhsa_exception_fp_ieee_div_zero 0
		.amdhsa_exception_fp_ieee_overflow 0
		.amdhsa_exception_fp_ieee_underflow 0
		.amdhsa_exception_fp_ieee_inexact 0
		.amdhsa_exception_int_div_zero 0
	.end_amdhsa_kernel
	.section	.text._Z19shuffle_down_kernelILj162ELj128EiEvPT1_S1_,"axG",@progbits,_Z19shuffle_down_kernelILj162ELj128EiEvPT1_S1_,comdat
.Lfunc_end61:
	.size	_Z19shuffle_down_kernelILj162ELj128EiEvPT1_S1_, .Lfunc_end61-_Z19shuffle_down_kernelILj162ELj128EiEvPT1_S1_
                                        ; -- End function
	.set _Z19shuffle_down_kernelILj162ELj128EiEvPT1_S1_.num_vgpr, 7
	.set _Z19shuffle_down_kernelILj162ELj128EiEvPT1_S1_.num_agpr, 0
	.set _Z19shuffle_down_kernelILj162ELj128EiEvPT1_S1_.numbered_sgpr, 5
	.set _Z19shuffle_down_kernelILj162ELj128EiEvPT1_S1_.num_named_barrier, 0
	.set _Z19shuffle_down_kernelILj162ELj128EiEvPT1_S1_.private_seg_size, 0
	.set _Z19shuffle_down_kernelILj162ELj128EiEvPT1_S1_.uses_vcc, 1
	.set _Z19shuffle_down_kernelILj162ELj128EiEvPT1_S1_.uses_flat_scratch, 0
	.set _Z19shuffle_down_kernelILj162ELj128EiEvPT1_S1_.has_dyn_sized_stack, 0
	.set _Z19shuffle_down_kernelILj162ELj128EiEvPT1_S1_.has_recursion, 0
	.set _Z19shuffle_down_kernelILj162ELj128EiEvPT1_S1_.has_indirect_call, 0
	.section	.AMDGPU.csdata,"",@progbits
; Kernel info:
; codeLenInByte = 3716
; TotalNumSgprs: 7
; NumVgprs: 7
; ScratchSize: 0
; MemoryBound: 1
; FloatMode: 240
; IeeeMode: 1
; LDSByteSize: 648 bytes/workgroup (compile time only)
; SGPRBlocks: 0
; VGPRBlocks: 0
; NumSGPRsForWavesPerEU: 7
; NumVGPRsForWavesPerEU: 7
; Occupancy: 16
; WaveLimiterHint : 1
; COMPUTE_PGM_RSRC2:SCRATCH_EN: 0
; COMPUTE_PGM_RSRC2:USER_SGPR: 2
; COMPUTE_PGM_RSRC2:TRAP_HANDLER: 0
; COMPUTE_PGM_RSRC2:TGID_X_EN: 1
; COMPUTE_PGM_RSRC2:TGID_Y_EN: 0
; COMPUTE_PGM_RSRC2:TGID_Z_EN: 0
; COMPUTE_PGM_RSRC2:TIDIG_COMP_CNT: 0
	.section	.text._Z19shuffle_down_kernelILj37ELj128EiEvPT1_S1_,"axG",@progbits,_Z19shuffle_down_kernelILj37ELj128EiEvPT1_S1_,comdat
	.protected	_Z19shuffle_down_kernelILj37ELj128EiEvPT1_S1_ ; -- Begin function _Z19shuffle_down_kernelILj37ELj128EiEvPT1_S1_
	.globl	_Z19shuffle_down_kernelILj37ELj128EiEvPT1_S1_
	.p2align	8
	.type	_Z19shuffle_down_kernelILj37ELj128EiEvPT1_S1_,@function
_Z19shuffle_down_kernelILj37ELj128EiEvPT1_S1_: ; @_Z19shuffle_down_kernelILj37ELj128EiEvPT1_S1_
; %bb.0:
	s_load_b128 s[0:3], s[0:1], 0x0
	s_mul_i32 s4, ttmp9, 37
	v_mov_b32_e32 v2, 0
	v_add_lshl_u32 v1, s4, v0, 7
	s_delay_alu instid0(VALU_DEP_1) | instskip(SKIP_1) | instid1(VALU_DEP_1)
	v_lshlrev_b64_e32 v[1:2], 2, v[1:2]
	s_wait_kmcnt 0x0
	v_add_co_u32 v3, vcc_lo, s0, v1
	s_delay_alu instid0(VALU_DEP_1)
	v_add_co_ci_u32_e64 v4, null, s1, v2, vcc_lo
	v_add_co_u32 v1, vcc_lo, s2, v1
	s_wait_alu 0xfffd
	v_add_co_ci_u32_e64 v2, null, s3, v2, vcc_lo
	global_load_b64 v[5:6], v[3:4], off
	s_mov_b32 s0, exec_lo
	s_wait_loadcnt 0x0
	global_store_b32 v[1:2], v6, off
	global_load_b32 v6, v[3:4], off offset:8
	s_wait_loadcnt 0x0
	global_store_b32 v[1:2], v6, off offset:4
	global_load_b32 v6, v[3:4], off offset:12
	s_wait_loadcnt 0x0
	global_store_b32 v[1:2], v6, off offset:8
	global_load_b32 v6, v[3:4], off offset:16
	s_wait_loadcnt 0x0
	global_store_b32 v[1:2], v6, off offset:12
	global_load_b32 v6, v[3:4], off offset:20
	s_wait_loadcnt 0x0
	global_store_b32 v[1:2], v6, off offset:16
	global_load_b32 v6, v[3:4], off offset:24
	s_wait_loadcnt 0x0
	global_store_b32 v[1:2], v6, off offset:20
	global_load_b32 v6, v[3:4], off offset:28
	s_wait_loadcnt 0x0
	global_store_b32 v[1:2], v6, off offset:24
	global_load_b32 v6, v[3:4], off offset:32
	s_wait_loadcnt 0x0
	global_store_b32 v[1:2], v6, off offset:28
	global_load_b32 v6, v[3:4], off offset:36
	s_wait_loadcnt 0x0
	global_store_b32 v[1:2], v6, off offset:32
	global_load_b32 v6, v[3:4], off offset:40
	s_wait_loadcnt 0x0
	global_store_b32 v[1:2], v6, off offset:36
	global_load_b32 v6, v[3:4], off offset:44
	s_wait_loadcnt 0x0
	global_store_b32 v[1:2], v6, off offset:40
	global_load_b32 v6, v[3:4], off offset:48
	s_wait_loadcnt 0x0
	global_store_b32 v[1:2], v6, off offset:44
	global_load_b32 v6, v[3:4], off offset:52
	s_wait_loadcnt 0x0
	global_store_b32 v[1:2], v6, off offset:48
	global_load_b32 v6, v[3:4], off offset:56
	s_wait_loadcnt 0x0
	global_store_b32 v[1:2], v6, off offset:52
	global_load_b32 v6, v[3:4], off offset:60
	s_wait_loadcnt 0x0
	global_store_b32 v[1:2], v6, off offset:56
	global_load_b32 v6, v[3:4], off offset:64
	s_wait_loadcnt 0x0
	global_store_b32 v[1:2], v6, off offset:60
	global_load_b32 v6, v[3:4], off offset:68
	s_wait_loadcnt 0x0
	global_store_b32 v[1:2], v6, off offset:64
	global_load_b32 v6, v[3:4], off offset:72
	s_wait_loadcnt 0x0
	global_store_b32 v[1:2], v6, off offset:68
	global_load_b32 v6, v[3:4], off offset:76
	s_wait_loadcnt 0x0
	global_store_b32 v[1:2], v6, off offset:72
	global_load_b32 v6, v[3:4], off offset:80
	s_wait_loadcnt 0x0
	global_store_b32 v[1:2], v6, off offset:76
	global_load_b32 v6, v[3:4], off offset:84
	s_wait_loadcnt 0x0
	global_store_b32 v[1:2], v6, off offset:80
	global_load_b32 v6, v[3:4], off offset:88
	s_wait_loadcnt 0x0
	global_store_b32 v[1:2], v6, off offset:84
	global_load_b32 v6, v[3:4], off offset:92
	s_wait_loadcnt 0x0
	global_store_b32 v[1:2], v6, off offset:88
	global_load_b32 v6, v[3:4], off offset:96
	s_wait_loadcnt 0x0
	global_store_b32 v[1:2], v6, off offset:92
	global_load_b32 v6, v[3:4], off offset:100
	s_wait_loadcnt 0x0
	global_store_b32 v[1:2], v6, off offset:96
	global_load_b32 v6, v[3:4], off offset:104
	s_wait_loadcnt 0x0
	global_store_b32 v[1:2], v6, off offset:100
	global_load_b32 v6, v[3:4], off offset:108
	s_wait_loadcnt 0x0
	global_store_b32 v[1:2], v6, off offset:104
	global_load_b32 v6, v[3:4], off offset:112
	s_wait_loadcnt 0x0
	global_store_b32 v[1:2], v6, off offset:108
	global_load_b32 v6, v[3:4], off offset:116
	s_wait_loadcnt 0x0
	global_store_b32 v[1:2], v6, off offset:112
	global_load_b32 v6, v[3:4], off offset:120
	s_wait_loadcnt 0x0
	global_store_b32 v[1:2], v6, off offset:116
	global_load_b32 v6, v[3:4], off offset:124
	s_wait_loadcnt 0x0
	global_store_b32 v[1:2], v6, off offset:120
	global_load_b32 v6, v[3:4], off offset:128
	s_wait_loadcnt 0x0
	global_store_b32 v[1:2], v6, off offset:124
	global_load_b32 v6, v[3:4], off offset:132
	s_wait_loadcnt 0x0
	global_store_b32 v[1:2], v6, off offset:128
	global_load_b32 v6, v[3:4], off offset:136
	s_wait_loadcnt 0x0
	global_store_b32 v[1:2], v6, off offset:132
	global_load_b32 v6, v[3:4], off offset:140
	s_wait_loadcnt 0x0
	global_store_b32 v[1:2], v6, off offset:136
	global_load_b32 v6, v[3:4], off offset:144
	s_wait_loadcnt 0x0
	global_store_b32 v[1:2], v6, off offset:140
	global_load_b32 v6, v[3:4], off offset:148
	s_wait_loadcnt 0x0
	global_store_b32 v[1:2], v6, off offset:144
	global_load_b32 v6, v[3:4], off offset:152
	s_wait_loadcnt 0x0
	global_store_b32 v[1:2], v6, off offset:148
	global_load_b32 v6, v[3:4], off offset:156
	s_wait_loadcnt 0x0
	global_store_b32 v[1:2], v6, off offset:152
	global_load_b32 v6, v[3:4], off offset:160
	s_wait_loadcnt 0x0
	global_store_b32 v[1:2], v6, off offset:156
	global_load_b32 v6, v[3:4], off offset:164
	s_wait_loadcnt 0x0
	global_store_b32 v[1:2], v6, off offset:160
	global_load_b32 v6, v[3:4], off offset:168
	s_wait_loadcnt 0x0
	global_store_b32 v[1:2], v6, off offset:164
	global_load_b32 v6, v[3:4], off offset:172
	s_wait_loadcnt 0x0
	global_store_b32 v[1:2], v6, off offset:168
	global_load_b32 v6, v[3:4], off offset:176
	s_wait_loadcnt 0x0
	global_store_b32 v[1:2], v6, off offset:172
	global_load_b32 v6, v[3:4], off offset:180
	s_wait_loadcnt 0x0
	global_store_b32 v[1:2], v6, off offset:176
	global_load_b32 v6, v[3:4], off offset:184
	s_wait_loadcnt 0x0
	global_store_b32 v[1:2], v6, off offset:180
	global_load_b32 v6, v[3:4], off offset:188
	s_wait_loadcnt 0x0
	global_store_b32 v[1:2], v6, off offset:184
	global_load_b32 v6, v[3:4], off offset:192
	s_wait_loadcnt 0x0
	global_store_b32 v[1:2], v6, off offset:188
	global_load_b32 v6, v[3:4], off offset:196
	s_wait_loadcnt 0x0
	global_store_b32 v[1:2], v6, off offset:192
	global_load_b32 v6, v[3:4], off offset:200
	s_wait_loadcnt 0x0
	global_store_b32 v[1:2], v6, off offset:196
	global_load_b32 v6, v[3:4], off offset:204
	s_wait_loadcnt 0x0
	global_store_b32 v[1:2], v6, off offset:200
	global_load_b32 v6, v[3:4], off offset:208
	s_wait_loadcnt 0x0
	global_store_b32 v[1:2], v6, off offset:204
	global_load_b32 v6, v[3:4], off offset:212
	s_wait_loadcnt 0x0
	global_store_b32 v[1:2], v6, off offset:208
	global_load_b32 v6, v[3:4], off offset:216
	s_wait_loadcnt 0x0
	global_store_b32 v[1:2], v6, off offset:212
	global_load_b32 v6, v[3:4], off offset:220
	s_wait_loadcnt 0x0
	global_store_b32 v[1:2], v6, off offset:216
	global_load_b32 v6, v[3:4], off offset:224
	s_wait_loadcnt 0x0
	global_store_b32 v[1:2], v6, off offset:220
	global_load_b32 v6, v[3:4], off offset:228
	s_wait_loadcnt 0x0
	global_store_b32 v[1:2], v6, off offset:224
	global_load_b32 v6, v[3:4], off offset:232
	s_wait_loadcnt 0x0
	global_store_b32 v[1:2], v6, off offset:228
	global_load_b32 v6, v[3:4], off offset:236
	s_wait_loadcnt 0x0
	global_store_b32 v[1:2], v6, off offset:232
	global_load_b32 v6, v[3:4], off offset:240
	s_wait_loadcnt 0x0
	global_store_b32 v[1:2], v6, off offset:236
	global_load_b32 v6, v[3:4], off offset:244
	s_wait_loadcnt 0x0
	global_store_b32 v[1:2], v6, off offset:240
	global_load_b32 v6, v[3:4], off offset:248
	s_wait_loadcnt 0x0
	global_store_b32 v[1:2], v6, off offset:244
	global_load_b32 v6, v[3:4], off offset:252
	s_wait_loadcnt 0x0
	global_store_b32 v[1:2], v6, off offset:248
	global_load_b32 v6, v[3:4], off offset:256
	s_wait_loadcnt 0x0
	global_store_b32 v[1:2], v6, off offset:252
	global_load_b32 v6, v[3:4], off offset:260
	s_wait_loadcnt 0x0
	global_store_b32 v[1:2], v6, off offset:256
	global_load_b32 v6, v[3:4], off offset:264
	s_wait_loadcnt 0x0
	global_store_b32 v[1:2], v6, off offset:260
	global_load_b32 v6, v[3:4], off offset:268
	s_wait_loadcnt 0x0
	global_store_b32 v[1:2], v6, off offset:264
	global_load_b32 v6, v[3:4], off offset:272
	s_wait_loadcnt 0x0
	global_store_b32 v[1:2], v6, off offset:268
	global_load_b32 v6, v[3:4], off offset:276
	s_wait_loadcnt 0x0
	global_store_b32 v[1:2], v6, off offset:272
	global_load_b32 v6, v[3:4], off offset:280
	s_wait_loadcnt 0x0
	global_store_b32 v[1:2], v6, off offset:276
	global_load_b32 v6, v[3:4], off offset:284
	s_wait_loadcnt 0x0
	global_store_b32 v[1:2], v6, off offset:280
	global_load_b32 v6, v[3:4], off offset:288
	s_wait_loadcnt 0x0
	global_store_b32 v[1:2], v6, off offset:284
	global_load_b32 v6, v[3:4], off offset:292
	s_wait_loadcnt 0x0
	global_store_b32 v[1:2], v6, off offset:288
	global_load_b32 v6, v[3:4], off offset:296
	s_wait_loadcnt 0x0
	global_store_b32 v[1:2], v6, off offset:292
	global_load_b32 v6, v[3:4], off offset:300
	s_wait_loadcnt 0x0
	global_store_b32 v[1:2], v6, off offset:296
	global_load_b32 v6, v[3:4], off offset:304
	s_wait_loadcnt 0x0
	global_store_b32 v[1:2], v6, off offset:300
	global_load_b32 v6, v[3:4], off offset:308
	s_wait_loadcnt 0x0
	global_store_b32 v[1:2], v6, off offset:304
	global_load_b32 v6, v[3:4], off offset:312
	s_wait_loadcnt 0x0
	global_store_b32 v[1:2], v6, off offset:308
	global_load_b32 v6, v[3:4], off offset:316
	s_wait_loadcnt 0x0
	global_store_b32 v[1:2], v6, off offset:312
	global_load_b32 v6, v[3:4], off offset:320
	s_wait_loadcnt 0x0
	global_store_b32 v[1:2], v6, off offset:316
	global_load_b32 v6, v[3:4], off offset:324
	s_wait_loadcnt 0x0
	global_store_b32 v[1:2], v6, off offset:320
	global_load_b32 v6, v[3:4], off offset:328
	s_wait_loadcnt 0x0
	global_store_b32 v[1:2], v6, off offset:324
	global_load_b32 v6, v[3:4], off offset:332
	s_wait_loadcnt 0x0
	global_store_b32 v[1:2], v6, off offset:328
	global_load_b32 v6, v[3:4], off offset:336
	s_wait_loadcnt 0x0
	global_store_b32 v[1:2], v6, off offset:332
	global_load_b32 v6, v[3:4], off offset:340
	s_wait_loadcnt 0x0
	global_store_b32 v[1:2], v6, off offset:336
	global_load_b32 v6, v[3:4], off offset:344
	s_wait_loadcnt 0x0
	global_store_b32 v[1:2], v6, off offset:340
	global_load_b32 v6, v[3:4], off offset:348
	s_wait_loadcnt 0x0
	global_store_b32 v[1:2], v6, off offset:344
	global_load_b32 v6, v[3:4], off offset:352
	s_wait_loadcnt 0x0
	global_store_b32 v[1:2], v6, off offset:348
	global_load_b32 v6, v[3:4], off offset:356
	s_wait_loadcnt 0x0
	global_store_b32 v[1:2], v6, off offset:352
	global_load_b32 v6, v[3:4], off offset:360
	s_wait_loadcnt 0x0
	global_store_b32 v[1:2], v6, off offset:356
	global_load_b32 v6, v[3:4], off offset:364
	s_wait_loadcnt 0x0
	global_store_b32 v[1:2], v6, off offset:360
	global_load_b32 v6, v[3:4], off offset:368
	s_wait_loadcnt 0x0
	global_store_b32 v[1:2], v6, off offset:364
	global_load_b32 v6, v[3:4], off offset:372
	s_wait_loadcnt 0x0
	global_store_b32 v[1:2], v6, off offset:368
	global_load_b32 v6, v[3:4], off offset:376
	s_wait_loadcnt 0x0
	global_store_b32 v[1:2], v6, off offset:372
	global_load_b32 v6, v[3:4], off offset:380
	s_wait_loadcnt 0x0
	global_store_b32 v[1:2], v6, off offset:376
	global_load_b32 v6, v[3:4], off offset:384
	s_wait_loadcnt 0x0
	global_store_b32 v[1:2], v6, off offset:380
	global_load_b32 v6, v[3:4], off offset:388
	s_wait_loadcnt 0x0
	global_store_b32 v[1:2], v6, off offset:384
	global_load_b32 v6, v[3:4], off offset:392
	s_wait_loadcnt 0x0
	global_store_b32 v[1:2], v6, off offset:388
	global_load_b32 v6, v[3:4], off offset:396
	s_wait_loadcnt 0x0
	global_store_b32 v[1:2], v6, off offset:392
	global_load_b32 v6, v[3:4], off offset:400
	s_wait_loadcnt 0x0
	global_store_b32 v[1:2], v6, off offset:396
	global_load_b32 v6, v[3:4], off offset:404
	s_wait_loadcnt 0x0
	global_store_b32 v[1:2], v6, off offset:400
	global_load_b32 v6, v[3:4], off offset:408
	s_wait_loadcnt 0x0
	global_store_b32 v[1:2], v6, off offset:404
	global_load_b32 v6, v[3:4], off offset:412
	s_wait_loadcnt 0x0
	global_store_b32 v[1:2], v6, off offset:408
	global_load_b32 v6, v[3:4], off offset:416
	s_wait_loadcnt 0x0
	global_store_b32 v[1:2], v6, off offset:412
	global_load_b32 v6, v[3:4], off offset:420
	s_wait_loadcnt 0x0
	global_store_b32 v[1:2], v6, off offset:416
	global_load_b32 v6, v[3:4], off offset:424
	s_wait_loadcnt 0x0
	global_store_b32 v[1:2], v6, off offset:420
	global_load_b32 v6, v[3:4], off offset:428
	s_wait_loadcnt 0x0
	global_store_b32 v[1:2], v6, off offset:424
	global_load_b32 v6, v[3:4], off offset:432
	s_wait_loadcnt 0x0
	global_store_b32 v[1:2], v6, off offset:428
	global_load_b32 v6, v[3:4], off offset:436
	s_wait_loadcnt 0x0
	global_store_b32 v[1:2], v6, off offset:432
	global_load_b32 v6, v[3:4], off offset:440
	s_wait_loadcnt 0x0
	global_store_b32 v[1:2], v6, off offset:436
	global_load_b32 v6, v[3:4], off offset:444
	s_wait_loadcnt 0x0
	global_store_b32 v[1:2], v6, off offset:440
	global_load_b32 v6, v[3:4], off offset:448
	s_wait_loadcnt 0x0
	global_store_b32 v[1:2], v6, off offset:444
	global_load_b32 v6, v[3:4], off offset:452
	s_wait_loadcnt 0x0
	global_store_b32 v[1:2], v6, off offset:448
	global_load_b32 v6, v[3:4], off offset:456
	s_wait_loadcnt 0x0
	global_store_b32 v[1:2], v6, off offset:452
	global_load_b32 v6, v[3:4], off offset:460
	s_wait_loadcnt 0x0
	global_store_b32 v[1:2], v6, off offset:456
	global_load_b32 v6, v[3:4], off offset:464
	s_wait_loadcnt 0x0
	global_store_b32 v[1:2], v6, off offset:460
	global_load_b32 v6, v[3:4], off offset:468
	s_wait_loadcnt 0x0
	global_store_b32 v[1:2], v6, off offset:464
	global_load_b32 v6, v[3:4], off offset:472
	s_wait_loadcnt 0x0
	global_store_b32 v[1:2], v6, off offset:468
	global_load_b32 v6, v[3:4], off offset:476
	s_wait_loadcnt 0x0
	global_store_b32 v[1:2], v6, off offset:472
	global_load_b32 v6, v[3:4], off offset:480
	s_wait_loadcnt 0x0
	global_store_b32 v[1:2], v6, off offset:476
	global_load_b32 v6, v[3:4], off offset:484
	s_wait_loadcnt 0x0
	global_store_b32 v[1:2], v6, off offset:480
	global_load_b32 v6, v[3:4], off offset:488
	s_wait_loadcnt 0x0
	global_store_b32 v[1:2], v6, off offset:484
	global_load_b32 v6, v[3:4], off offset:492
	s_wait_loadcnt 0x0
	global_store_b32 v[1:2], v6, off offset:488
	global_load_b32 v6, v[3:4], off offset:496
	s_wait_loadcnt 0x0
	global_store_b32 v[1:2], v6, off offset:492
	global_load_b32 v6, v[3:4], off offset:500
	s_wait_loadcnt 0x0
	global_store_b32 v[1:2], v6, off offset:496
	global_load_b32 v6, v[3:4], off offset:504
	s_wait_loadcnt 0x0
	global_store_b32 v[1:2], v6, off offset:500
	global_load_b32 v4, v[3:4], off offset:508
	v_lshlrev_b32_e32 v3, 2, v0
	ds_store_b32 v3, v5
	s_wait_loadcnt 0x0
	global_store_b32 v[1:2], v4, off offset:504
	s_wait_storecnt_dscnt 0x0
	s_barrier_signal -1
	s_barrier_wait -1
	global_inv scope:SCOPE_SE
	v_cmpx_gt_u32_e32 36, v0
	s_cbranch_execz .LBB62_2
; %bb.1:
	ds_load_b32 v0, v3 offset:4
	s_wait_dscnt 0x0
	global_store_b32 v[1:2], v0, off offset:508
.LBB62_2:
	s_endpgm
	.section	.rodata,"a",@progbits
	.p2align	6, 0x0
	.amdhsa_kernel _Z19shuffle_down_kernelILj37ELj128EiEvPT1_S1_
		.amdhsa_group_segment_fixed_size 148
		.amdhsa_private_segment_fixed_size 0
		.amdhsa_kernarg_size 16
		.amdhsa_user_sgpr_count 2
		.amdhsa_user_sgpr_dispatch_ptr 0
		.amdhsa_user_sgpr_queue_ptr 0
		.amdhsa_user_sgpr_kernarg_segment_ptr 1
		.amdhsa_user_sgpr_dispatch_id 0
		.amdhsa_user_sgpr_private_segment_size 0
		.amdhsa_wavefront_size32 1
		.amdhsa_uses_dynamic_stack 0
		.amdhsa_enable_private_segment 0
		.amdhsa_system_sgpr_workgroup_id_x 1
		.amdhsa_system_sgpr_workgroup_id_y 0
		.amdhsa_system_sgpr_workgroup_id_z 0
		.amdhsa_system_sgpr_workgroup_info 0
		.amdhsa_system_vgpr_workitem_id 0
		.amdhsa_next_free_vgpr 7
		.amdhsa_next_free_sgpr 5
		.amdhsa_reserve_vcc 1
		.amdhsa_float_round_mode_32 0
		.amdhsa_float_round_mode_16_64 0
		.amdhsa_float_denorm_mode_32 3
		.amdhsa_float_denorm_mode_16_64 3
		.amdhsa_fp16_overflow 0
		.amdhsa_workgroup_processor_mode 1
		.amdhsa_memory_ordered 1
		.amdhsa_forward_progress 1
		.amdhsa_inst_pref_size 29
		.amdhsa_round_robin_scheduling 0
		.amdhsa_exception_fp_ieee_invalid_op 0
		.amdhsa_exception_fp_denorm_src 0
		.amdhsa_exception_fp_ieee_div_zero 0
		.amdhsa_exception_fp_ieee_overflow 0
		.amdhsa_exception_fp_ieee_underflow 0
		.amdhsa_exception_fp_ieee_inexact 0
		.amdhsa_exception_int_div_zero 0
	.end_amdhsa_kernel
	.section	.text._Z19shuffle_down_kernelILj37ELj128EiEvPT1_S1_,"axG",@progbits,_Z19shuffle_down_kernelILj37ELj128EiEvPT1_S1_,comdat
.Lfunc_end62:
	.size	_Z19shuffle_down_kernelILj37ELj128EiEvPT1_S1_, .Lfunc_end62-_Z19shuffle_down_kernelILj37ELj128EiEvPT1_S1_
                                        ; -- End function
	.set _Z19shuffle_down_kernelILj37ELj128EiEvPT1_S1_.num_vgpr, 7
	.set _Z19shuffle_down_kernelILj37ELj128EiEvPT1_S1_.num_agpr, 0
	.set _Z19shuffle_down_kernelILj37ELj128EiEvPT1_S1_.numbered_sgpr, 5
	.set _Z19shuffle_down_kernelILj37ELj128EiEvPT1_S1_.num_named_barrier, 0
	.set _Z19shuffle_down_kernelILj37ELj128EiEvPT1_S1_.private_seg_size, 0
	.set _Z19shuffle_down_kernelILj37ELj128EiEvPT1_S1_.uses_vcc, 1
	.set _Z19shuffle_down_kernelILj37ELj128EiEvPT1_S1_.uses_flat_scratch, 0
	.set _Z19shuffle_down_kernelILj37ELj128EiEvPT1_S1_.has_dyn_sized_stack, 0
	.set _Z19shuffle_down_kernelILj37ELj128EiEvPT1_S1_.has_recursion, 0
	.set _Z19shuffle_down_kernelILj37ELj128EiEvPT1_S1_.has_indirect_call, 0
	.section	.AMDGPU.csdata,"",@progbits
; Kernel info:
; codeLenInByte = 3708
; TotalNumSgprs: 7
; NumVgprs: 7
; ScratchSize: 0
; MemoryBound: 1
; FloatMode: 240
; IeeeMode: 1
; LDSByteSize: 148 bytes/workgroup (compile time only)
; SGPRBlocks: 0
; VGPRBlocks: 0
; NumSGPRsForWavesPerEU: 7
; NumVGPRsForWavesPerEU: 7
; Occupancy: 16
; WaveLimiterHint : 1
; COMPUTE_PGM_RSRC2:SCRATCH_EN: 0
; COMPUTE_PGM_RSRC2:USER_SGPR: 2
; COMPUTE_PGM_RSRC2:TRAP_HANDLER: 0
; COMPUTE_PGM_RSRC2:TGID_X_EN: 1
; COMPUTE_PGM_RSRC2:TGID_Y_EN: 0
; COMPUTE_PGM_RSRC2:TGID_Z_EN: 0
; COMPUTE_PGM_RSRC2:TIDIG_COMP_CNT: 0
	.section	.text._Z19shuffle_down_kernelILj65ELj128EiEvPT1_S1_,"axG",@progbits,_Z19shuffle_down_kernelILj65ELj128EiEvPT1_S1_,comdat
	.protected	_Z19shuffle_down_kernelILj65ELj128EiEvPT1_S1_ ; -- Begin function _Z19shuffle_down_kernelILj65ELj128EiEvPT1_S1_
	.globl	_Z19shuffle_down_kernelILj65ELj128EiEvPT1_S1_
	.p2align	8
	.type	_Z19shuffle_down_kernelILj65ELj128EiEvPT1_S1_,@function
_Z19shuffle_down_kernelILj65ELj128EiEvPT1_S1_: ; @_Z19shuffle_down_kernelILj65ELj128EiEvPT1_S1_
; %bb.0:
	s_load_b128 s[0:3], s[0:1], 0x0
	s_mul_i32 s4, ttmp9, 0x41
	v_mov_b32_e32 v2, 0
	v_add_lshl_u32 v1, s4, v0, 7
	s_delay_alu instid0(VALU_DEP_1) | instskip(SKIP_1) | instid1(VALU_DEP_1)
	v_lshlrev_b64_e32 v[1:2], 2, v[1:2]
	s_wait_kmcnt 0x0
	v_add_co_u32 v3, vcc_lo, s0, v1
	s_delay_alu instid0(VALU_DEP_1)
	v_add_co_ci_u32_e64 v4, null, s1, v2, vcc_lo
	v_add_co_u32 v1, vcc_lo, s2, v1
	s_wait_alu 0xfffd
	v_add_co_ci_u32_e64 v2, null, s3, v2, vcc_lo
	global_load_b64 v[5:6], v[3:4], off
	s_mov_b32 s0, exec_lo
	s_wait_loadcnt 0x0
	global_store_b32 v[1:2], v6, off
	global_load_b32 v6, v[3:4], off offset:8
	s_wait_loadcnt 0x0
	global_store_b32 v[1:2], v6, off offset:4
	global_load_b32 v6, v[3:4], off offset:12
	s_wait_loadcnt 0x0
	global_store_b32 v[1:2], v6, off offset:8
	;; [unrolled: 3-line block ×125, first 2 shown]
	global_load_b32 v4, v[3:4], off offset:508
	v_lshlrev_b32_e32 v3, 2, v0
	ds_store_b32 v3, v5
	s_wait_loadcnt 0x0
	global_store_b32 v[1:2], v4, off offset:504
	s_wait_storecnt_dscnt 0x0
	s_barrier_signal -1
	s_barrier_wait -1
	global_inv scope:SCOPE_SE
	v_cmpx_gt_u32_e32 64, v0
	s_cbranch_execz .LBB63_2
; %bb.1:
	ds_load_b32 v0, v3 offset:4
	s_wait_dscnt 0x0
	global_store_b32 v[1:2], v0, off offset:508
.LBB63_2:
	s_endpgm
	.section	.rodata,"a",@progbits
	.p2align	6, 0x0
	.amdhsa_kernel _Z19shuffle_down_kernelILj65ELj128EiEvPT1_S1_
		.amdhsa_group_segment_fixed_size 260
		.amdhsa_private_segment_fixed_size 0
		.amdhsa_kernarg_size 16
		.amdhsa_user_sgpr_count 2
		.amdhsa_user_sgpr_dispatch_ptr 0
		.amdhsa_user_sgpr_queue_ptr 0
		.amdhsa_user_sgpr_kernarg_segment_ptr 1
		.amdhsa_user_sgpr_dispatch_id 0
		.amdhsa_user_sgpr_private_segment_size 0
		.amdhsa_wavefront_size32 1
		.amdhsa_uses_dynamic_stack 0
		.amdhsa_enable_private_segment 0
		.amdhsa_system_sgpr_workgroup_id_x 1
		.amdhsa_system_sgpr_workgroup_id_y 0
		.amdhsa_system_sgpr_workgroup_id_z 0
		.amdhsa_system_sgpr_workgroup_info 0
		.amdhsa_system_vgpr_workitem_id 0
		.amdhsa_next_free_vgpr 7
		.amdhsa_next_free_sgpr 5
		.amdhsa_reserve_vcc 1
		.amdhsa_float_round_mode_32 0
		.amdhsa_float_round_mode_16_64 0
		.amdhsa_float_denorm_mode_32 3
		.amdhsa_float_denorm_mode_16_64 3
		.amdhsa_fp16_overflow 0
		.amdhsa_workgroup_processor_mode 1
		.amdhsa_memory_ordered 1
		.amdhsa_forward_progress 1
		.amdhsa_inst_pref_size 29
		.amdhsa_round_robin_scheduling 0
		.amdhsa_exception_fp_ieee_invalid_op 0
		.amdhsa_exception_fp_denorm_src 0
		.amdhsa_exception_fp_ieee_div_zero 0
		.amdhsa_exception_fp_ieee_overflow 0
		.amdhsa_exception_fp_ieee_underflow 0
		.amdhsa_exception_fp_ieee_inexact 0
		.amdhsa_exception_int_div_zero 0
	.end_amdhsa_kernel
	.section	.text._Z19shuffle_down_kernelILj65ELj128EiEvPT1_S1_,"axG",@progbits,_Z19shuffle_down_kernelILj65ELj128EiEvPT1_S1_,comdat
.Lfunc_end63:
	.size	_Z19shuffle_down_kernelILj65ELj128EiEvPT1_S1_, .Lfunc_end63-_Z19shuffle_down_kernelILj65ELj128EiEvPT1_S1_
                                        ; -- End function
	.set _Z19shuffle_down_kernelILj65ELj128EiEvPT1_S1_.num_vgpr, 7
	.set _Z19shuffle_down_kernelILj65ELj128EiEvPT1_S1_.num_agpr, 0
	.set _Z19shuffle_down_kernelILj65ELj128EiEvPT1_S1_.numbered_sgpr, 5
	.set _Z19shuffle_down_kernelILj65ELj128EiEvPT1_S1_.num_named_barrier, 0
	.set _Z19shuffle_down_kernelILj65ELj128EiEvPT1_S1_.private_seg_size, 0
	.set _Z19shuffle_down_kernelILj65ELj128EiEvPT1_S1_.uses_vcc, 1
	.set _Z19shuffle_down_kernelILj65ELj128EiEvPT1_S1_.uses_flat_scratch, 0
	.set _Z19shuffle_down_kernelILj65ELj128EiEvPT1_S1_.has_dyn_sized_stack, 0
	.set _Z19shuffle_down_kernelILj65ELj128EiEvPT1_S1_.has_recursion, 0
	.set _Z19shuffle_down_kernelILj65ELj128EiEvPT1_S1_.has_indirect_call, 0
	.section	.AMDGPU.csdata,"",@progbits
; Kernel info:
; codeLenInByte = 3712
; TotalNumSgprs: 7
; NumVgprs: 7
; ScratchSize: 0
; MemoryBound: 1
; FloatMode: 240
; IeeeMode: 1
; LDSByteSize: 260 bytes/workgroup (compile time only)
; SGPRBlocks: 0
; VGPRBlocks: 0
; NumSGPRsForWavesPerEU: 7
; NumVGPRsForWavesPerEU: 7
; Occupancy: 16
; WaveLimiterHint : 1
; COMPUTE_PGM_RSRC2:SCRATCH_EN: 0
; COMPUTE_PGM_RSRC2:USER_SGPR: 2
; COMPUTE_PGM_RSRC2:TRAP_HANDLER: 0
; COMPUTE_PGM_RSRC2:TGID_X_EN: 1
; COMPUTE_PGM_RSRC2:TGID_Y_EN: 0
; COMPUTE_PGM_RSRC2:TGID_Z_EN: 0
; COMPUTE_PGM_RSRC2:TIDIG_COMP_CNT: 0
	.section	.text._Z19shuffle_down_kernelILj512ELj128EiEvPT1_S1_,"axG",@progbits,_Z19shuffle_down_kernelILj512ELj128EiEvPT1_S1_,comdat
	.protected	_Z19shuffle_down_kernelILj512ELj128EiEvPT1_S1_ ; -- Begin function _Z19shuffle_down_kernelILj512ELj128EiEvPT1_S1_
	.globl	_Z19shuffle_down_kernelILj512ELj128EiEvPT1_S1_
	.p2align	8
	.type	_Z19shuffle_down_kernelILj512ELj128EiEvPT1_S1_,@function
_Z19shuffle_down_kernelILj512ELj128EiEvPT1_S1_: ; @_Z19shuffle_down_kernelILj512ELj128EiEvPT1_S1_
; %bb.0:
	s_load_b128 s[0:3], s[0:1], 0x0
	v_dual_mov_b32 v2, 0 :: v_dual_lshlrev_b32 v1, 7, v0
	s_delay_alu instid0(VALU_DEP_1) | instskip(NEXT) | instid1(VALU_DEP_1)
	v_lshl_or_b32 v1, ttmp9, 16, v1
	v_lshlrev_b64_e32 v[1:2], 2, v[1:2]
	s_wait_kmcnt 0x0
	s_delay_alu instid0(VALU_DEP_1) | instskip(NEXT) | instid1(VALU_DEP_1)
	v_add_co_u32 v3, vcc_lo, s0, v1
	v_add_co_ci_u32_e64 v4, null, s1, v2, vcc_lo
	v_add_co_u32 v1, vcc_lo, s2, v1
	s_wait_alu 0xfffd
	v_add_co_ci_u32_e64 v2, null, s3, v2, vcc_lo
	global_load_b64 v[5:6], v[3:4], off
	s_mov_b32 s0, exec_lo
	s_wait_loadcnt 0x0
	global_store_b32 v[1:2], v6, off
	global_load_b32 v6, v[3:4], off offset:8
	s_wait_loadcnt 0x0
	global_store_b32 v[1:2], v6, off offset:4
	global_load_b32 v6, v[3:4], off offset:12
	s_wait_loadcnt 0x0
	global_store_b32 v[1:2], v6, off offset:8
	;; [unrolled: 3-line block ×125, first 2 shown]
	global_load_b32 v4, v[3:4], off offset:508
	v_lshlrev_b32_e32 v3, 2, v0
	ds_store_b32 v3, v5
	s_wait_loadcnt 0x0
	global_store_b32 v[1:2], v4, off offset:504
	s_wait_storecnt_dscnt 0x0
	s_barrier_signal -1
	s_barrier_wait -1
	global_inv scope:SCOPE_SE
	v_cmpx_gt_u32_e32 0x1ff, v0
	s_cbranch_execz .LBB64_2
; %bb.1:
	ds_load_b32 v0, v3 offset:4
	s_wait_dscnt 0x0
	global_store_b32 v[1:2], v0, off offset:508
.LBB64_2:
	s_endpgm
	.section	.rodata,"a",@progbits
	.p2align	6, 0x0
	.amdhsa_kernel _Z19shuffle_down_kernelILj512ELj128EiEvPT1_S1_
		.amdhsa_group_segment_fixed_size 2048
		.amdhsa_private_segment_fixed_size 0
		.amdhsa_kernarg_size 16
		.amdhsa_user_sgpr_count 2
		.amdhsa_user_sgpr_dispatch_ptr 0
		.amdhsa_user_sgpr_queue_ptr 0
		.amdhsa_user_sgpr_kernarg_segment_ptr 1
		.amdhsa_user_sgpr_dispatch_id 0
		.amdhsa_user_sgpr_private_segment_size 0
		.amdhsa_wavefront_size32 1
		.amdhsa_uses_dynamic_stack 0
		.amdhsa_enable_private_segment 0
		.amdhsa_system_sgpr_workgroup_id_x 1
		.amdhsa_system_sgpr_workgroup_id_y 0
		.amdhsa_system_sgpr_workgroup_id_z 0
		.amdhsa_system_sgpr_workgroup_info 0
		.amdhsa_system_vgpr_workitem_id 0
		.amdhsa_next_free_vgpr 7
		.amdhsa_next_free_sgpr 4
		.amdhsa_reserve_vcc 1
		.amdhsa_float_round_mode_32 0
		.amdhsa_float_round_mode_16_64 0
		.amdhsa_float_denorm_mode_32 3
		.amdhsa_float_denorm_mode_16_64 3
		.amdhsa_fp16_overflow 0
		.amdhsa_workgroup_processor_mode 1
		.amdhsa_memory_ordered 1
		.amdhsa_forward_progress 1
		.amdhsa_inst_pref_size 29
		.amdhsa_round_robin_scheduling 0
		.amdhsa_exception_fp_ieee_invalid_op 0
		.amdhsa_exception_fp_denorm_src 0
		.amdhsa_exception_fp_ieee_div_zero 0
		.amdhsa_exception_fp_ieee_overflow 0
		.amdhsa_exception_fp_ieee_underflow 0
		.amdhsa_exception_fp_ieee_inexact 0
		.amdhsa_exception_int_div_zero 0
	.end_amdhsa_kernel
	.section	.text._Z19shuffle_down_kernelILj512ELj128EiEvPT1_S1_,"axG",@progbits,_Z19shuffle_down_kernelILj512ELj128EiEvPT1_S1_,comdat
.Lfunc_end64:
	.size	_Z19shuffle_down_kernelILj512ELj128EiEvPT1_S1_, .Lfunc_end64-_Z19shuffle_down_kernelILj512ELj128EiEvPT1_S1_
                                        ; -- End function
	.set _Z19shuffle_down_kernelILj512ELj128EiEvPT1_S1_.num_vgpr, 7
	.set _Z19shuffle_down_kernelILj512ELj128EiEvPT1_S1_.num_agpr, 0
	.set _Z19shuffle_down_kernelILj512ELj128EiEvPT1_S1_.numbered_sgpr, 4
	.set _Z19shuffle_down_kernelILj512ELj128EiEvPT1_S1_.num_named_barrier, 0
	.set _Z19shuffle_down_kernelILj512ELj128EiEvPT1_S1_.private_seg_size, 0
	.set _Z19shuffle_down_kernelILj512ELj128EiEvPT1_S1_.uses_vcc, 1
	.set _Z19shuffle_down_kernelILj512ELj128EiEvPT1_S1_.uses_flat_scratch, 0
	.set _Z19shuffle_down_kernelILj512ELj128EiEvPT1_S1_.has_dyn_sized_stack, 0
	.set _Z19shuffle_down_kernelILj512ELj128EiEvPT1_S1_.has_recursion, 0
	.set _Z19shuffle_down_kernelILj512ELj128EiEvPT1_S1_.has_indirect_call, 0
	.section	.AMDGPU.csdata,"",@progbits
; Kernel info:
; codeLenInByte = 3712
; TotalNumSgprs: 6
; NumVgprs: 7
; ScratchSize: 0
; MemoryBound: 1
; FloatMode: 240
; IeeeMode: 1
; LDSByteSize: 2048 bytes/workgroup (compile time only)
; SGPRBlocks: 0
; VGPRBlocks: 0
; NumSGPRsForWavesPerEU: 6
; NumVGPRsForWavesPerEU: 7
; Occupancy: 16
; WaveLimiterHint : 1
; COMPUTE_PGM_RSRC2:SCRATCH_EN: 0
; COMPUTE_PGM_RSRC2:USER_SGPR: 2
; COMPUTE_PGM_RSRC2:TRAP_HANDLER: 0
; COMPUTE_PGM_RSRC2:TGID_X_EN: 1
; COMPUTE_PGM_RSRC2:TGID_Y_EN: 0
; COMPUTE_PGM_RSRC2:TGID_Z_EN: 0
; COMPUTE_PGM_RSRC2:TIDIG_COMP_CNT: 0
	.section	.text._Z19shuffle_down_kernelILj256ELj128EiEvPT1_S1_,"axG",@progbits,_Z19shuffle_down_kernelILj256ELj128EiEvPT1_S1_,comdat
	.protected	_Z19shuffle_down_kernelILj256ELj128EiEvPT1_S1_ ; -- Begin function _Z19shuffle_down_kernelILj256ELj128EiEvPT1_S1_
	.globl	_Z19shuffle_down_kernelILj256ELj128EiEvPT1_S1_
	.p2align	8
	.type	_Z19shuffle_down_kernelILj256ELj128EiEvPT1_S1_,@function
_Z19shuffle_down_kernelILj256ELj128EiEvPT1_S1_: ; @_Z19shuffle_down_kernelILj256ELj128EiEvPT1_S1_
; %bb.0:
	s_load_b128 s[0:3], s[0:1], 0x0
	v_dual_mov_b32 v2, 0 :: v_dual_lshlrev_b32 v1, 7, v0
	s_delay_alu instid0(VALU_DEP_1) | instskip(NEXT) | instid1(VALU_DEP_1)
	v_lshl_or_b32 v1, ttmp9, 15, v1
	v_lshlrev_b64_e32 v[1:2], 2, v[1:2]
	s_wait_kmcnt 0x0
	s_delay_alu instid0(VALU_DEP_1) | instskip(NEXT) | instid1(VALU_DEP_1)
	v_add_co_u32 v3, vcc_lo, s0, v1
	v_add_co_ci_u32_e64 v4, null, s1, v2, vcc_lo
	v_add_co_u32 v1, vcc_lo, s2, v1
	s_wait_alu 0xfffd
	v_add_co_ci_u32_e64 v2, null, s3, v2, vcc_lo
	global_load_b64 v[5:6], v[3:4], off
	s_mov_b32 s0, exec_lo
	s_wait_loadcnt 0x0
	global_store_b32 v[1:2], v6, off
	global_load_b32 v6, v[3:4], off offset:8
	s_wait_loadcnt 0x0
	global_store_b32 v[1:2], v6, off offset:4
	global_load_b32 v6, v[3:4], off offset:12
	s_wait_loadcnt 0x0
	global_store_b32 v[1:2], v6, off offset:8
	;; [unrolled: 3-line block ×125, first 2 shown]
	global_load_b32 v4, v[3:4], off offset:508
	v_lshlrev_b32_e32 v3, 2, v0
	ds_store_b32 v3, v5
	s_wait_loadcnt 0x0
	global_store_b32 v[1:2], v4, off offset:504
	s_wait_storecnt_dscnt 0x0
	s_barrier_signal -1
	s_barrier_wait -1
	global_inv scope:SCOPE_SE
	v_cmpx_gt_u32_e32 0xff, v0
	s_cbranch_execz .LBB65_2
; %bb.1:
	ds_load_b32 v0, v3 offset:4
	s_wait_dscnt 0x0
	global_store_b32 v[1:2], v0, off offset:508
.LBB65_2:
	s_endpgm
	.section	.rodata,"a",@progbits
	.p2align	6, 0x0
	.amdhsa_kernel _Z19shuffle_down_kernelILj256ELj128EiEvPT1_S1_
		.amdhsa_group_segment_fixed_size 1024
		.amdhsa_private_segment_fixed_size 0
		.amdhsa_kernarg_size 16
		.amdhsa_user_sgpr_count 2
		.amdhsa_user_sgpr_dispatch_ptr 0
		.amdhsa_user_sgpr_queue_ptr 0
		.amdhsa_user_sgpr_kernarg_segment_ptr 1
		.amdhsa_user_sgpr_dispatch_id 0
		.amdhsa_user_sgpr_private_segment_size 0
		.amdhsa_wavefront_size32 1
		.amdhsa_uses_dynamic_stack 0
		.amdhsa_enable_private_segment 0
		.amdhsa_system_sgpr_workgroup_id_x 1
		.amdhsa_system_sgpr_workgroup_id_y 0
		.amdhsa_system_sgpr_workgroup_id_z 0
		.amdhsa_system_sgpr_workgroup_info 0
		.amdhsa_system_vgpr_workitem_id 0
		.amdhsa_next_free_vgpr 7
		.amdhsa_next_free_sgpr 4
		.amdhsa_reserve_vcc 1
		.amdhsa_float_round_mode_32 0
		.amdhsa_float_round_mode_16_64 0
		.amdhsa_float_denorm_mode_32 3
		.amdhsa_float_denorm_mode_16_64 3
		.amdhsa_fp16_overflow 0
		.amdhsa_workgroup_processor_mode 1
		.amdhsa_memory_ordered 1
		.amdhsa_forward_progress 1
		.amdhsa_inst_pref_size 29
		.amdhsa_round_robin_scheduling 0
		.amdhsa_exception_fp_ieee_invalid_op 0
		.amdhsa_exception_fp_denorm_src 0
		.amdhsa_exception_fp_ieee_div_zero 0
		.amdhsa_exception_fp_ieee_overflow 0
		.amdhsa_exception_fp_ieee_underflow 0
		.amdhsa_exception_fp_ieee_inexact 0
		.amdhsa_exception_int_div_zero 0
	.end_amdhsa_kernel
	.section	.text._Z19shuffle_down_kernelILj256ELj128EiEvPT1_S1_,"axG",@progbits,_Z19shuffle_down_kernelILj256ELj128EiEvPT1_S1_,comdat
.Lfunc_end65:
	.size	_Z19shuffle_down_kernelILj256ELj128EiEvPT1_S1_, .Lfunc_end65-_Z19shuffle_down_kernelILj256ELj128EiEvPT1_S1_
                                        ; -- End function
	.set _Z19shuffle_down_kernelILj256ELj128EiEvPT1_S1_.num_vgpr, 7
	.set _Z19shuffle_down_kernelILj256ELj128EiEvPT1_S1_.num_agpr, 0
	.set _Z19shuffle_down_kernelILj256ELj128EiEvPT1_S1_.numbered_sgpr, 4
	.set _Z19shuffle_down_kernelILj256ELj128EiEvPT1_S1_.num_named_barrier, 0
	.set _Z19shuffle_down_kernelILj256ELj128EiEvPT1_S1_.private_seg_size, 0
	.set _Z19shuffle_down_kernelILj256ELj128EiEvPT1_S1_.uses_vcc, 1
	.set _Z19shuffle_down_kernelILj256ELj128EiEvPT1_S1_.uses_flat_scratch, 0
	.set _Z19shuffle_down_kernelILj256ELj128EiEvPT1_S1_.has_dyn_sized_stack, 0
	.set _Z19shuffle_down_kernelILj256ELj128EiEvPT1_S1_.has_recursion, 0
	.set _Z19shuffle_down_kernelILj256ELj128EiEvPT1_S1_.has_indirect_call, 0
	.section	.AMDGPU.csdata,"",@progbits
; Kernel info:
; codeLenInByte = 3712
; TotalNumSgprs: 6
; NumVgprs: 7
; ScratchSize: 0
; MemoryBound: 1
; FloatMode: 240
; IeeeMode: 1
; LDSByteSize: 1024 bytes/workgroup (compile time only)
; SGPRBlocks: 0
; VGPRBlocks: 0
; NumSGPRsForWavesPerEU: 6
; NumVGPRsForWavesPerEU: 7
; Occupancy: 16
; WaveLimiterHint : 1
; COMPUTE_PGM_RSRC2:SCRATCH_EN: 0
; COMPUTE_PGM_RSRC2:USER_SGPR: 2
; COMPUTE_PGM_RSRC2:TRAP_HANDLER: 0
; COMPUTE_PGM_RSRC2:TGID_X_EN: 1
; COMPUTE_PGM_RSRC2:TGID_Y_EN: 0
; COMPUTE_PGM_RSRC2:TGID_Z_EN: 0
; COMPUTE_PGM_RSRC2:TIDIG_COMP_CNT: 0
	.section	.text._Z19shuffle_down_kernelILj128ELj128EiEvPT1_S1_,"axG",@progbits,_Z19shuffle_down_kernelILj128ELj128EiEvPT1_S1_,comdat
	.protected	_Z19shuffle_down_kernelILj128ELj128EiEvPT1_S1_ ; -- Begin function _Z19shuffle_down_kernelILj128ELj128EiEvPT1_S1_
	.globl	_Z19shuffle_down_kernelILj128ELj128EiEvPT1_S1_
	.p2align	8
	.type	_Z19shuffle_down_kernelILj128ELj128EiEvPT1_S1_,@function
_Z19shuffle_down_kernelILj128ELj128EiEvPT1_S1_: ; @_Z19shuffle_down_kernelILj128ELj128EiEvPT1_S1_
; %bb.0:
	s_load_b128 s[0:3], s[0:1], 0x0
	v_dual_mov_b32 v2, 0 :: v_dual_lshlrev_b32 v1, 7, v0
	s_delay_alu instid0(VALU_DEP_1) | instskip(NEXT) | instid1(VALU_DEP_1)
	v_lshl_or_b32 v1, ttmp9, 14, v1
	v_lshlrev_b64_e32 v[1:2], 2, v[1:2]
	s_wait_kmcnt 0x0
	s_delay_alu instid0(VALU_DEP_1) | instskip(NEXT) | instid1(VALU_DEP_1)
	v_add_co_u32 v3, vcc_lo, s0, v1
	v_add_co_ci_u32_e64 v4, null, s1, v2, vcc_lo
	v_add_co_u32 v1, vcc_lo, s2, v1
	s_wait_alu 0xfffd
	v_add_co_ci_u32_e64 v2, null, s3, v2, vcc_lo
	global_load_b64 v[5:6], v[3:4], off
	s_mov_b32 s0, exec_lo
	s_wait_loadcnt 0x0
	global_store_b32 v[1:2], v6, off
	global_load_b32 v6, v[3:4], off offset:8
	s_wait_loadcnt 0x0
	global_store_b32 v[1:2], v6, off offset:4
	global_load_b32 v6, v[3:4], off offset:12
	s_wait_loadcnt 0x0
	global_store_b32 v[1:2], v6, off offset:8
	;; [unrolled: 3-line block ×125, first 2 shown]
	global_load_b32 v4, v[3:4], off offset:508
	v_lshlrev_b32_e32 v3, 2, v0
	ds_store_b32 v3, v5
	s_wait_loadcnt 0x0
	global_store_b32 v[1:2], v4, off offset:504
	s_wait_storecnt_dscnt 0x0
	s_barrier_signal -1
	s_barrier_wait -1
	global_inv scope:SCOPE_SE
	v_cmpx_gt_u32_e32 0x7f, v0
	s_cbranch_execz .LBB66_2
; %bb.1:
	ds_load_b32 v0, v3 offset:4
	s_wait_dscnt 0x0
	global_store_b32 v[1:2], v0, off offset:508
.LBB66_2:
	s_endpgm
	.section	.rodata,"a",@progbits
	.p2align	6, 0x0
	.amdhsa_kernel _Z19shuffle_down_kernelILj128ELj128EiEvPT1_S1_
		.amdhsa_group_segment_fixed_size 512
		.amdhsa_private_segment_fixed_size 0
		.amdhsa_kernarg_size 16
		.amdhsa_user_sgpr_count 2
		.amdhsa_user_sgpr_dispatch_ptr 0
		.amdhsa_user_sgpr_queue_ptr 0
		.amdhsa_user_sgpr_kernarg_segment_ptr 1
		.amdhsa_user_sgpr_dispatch_id 0
		.amdhsa_user_sgpr_private_segment_size 0
		.amdhsa_wavefront_size32 1
		.amdhsa_uses_dynamic_stack 0
		.amdhsa_enable_private_segment 0
		.amdhsa_system_sgpr_workgroup_id_x 1
		.amdhsa_system_sgpr_workgroup_id_y 0
		.amdhsa_system_sgpr_workgroup_id_z 0
		.amdhsa_system_sgpr_workgroup_info 0
		.amdhsa_system_vgpr_workitem_id 0
		.amdhsa_next_free_vgpr 7
		.amdhsa_next_free_sgpr 4
		.amdhsa_reserve_vcc 1
		.amdhsa_float_round_mode_32 0
		.amdhsa_float_round_mode_16_64 0
		.amdhsa_float_denorm_mode_32 3
		.amdhsa_float_denorm_mode_16_64 3
		.amdhsa_fp16_overflow 0
		.amdhsa_workgroup_processor_mode 1
		.amdhsa_memory_ordered 1
		.amdhsa_forward_progress 1
		.amdhsa_inst_pref_size 29
		.amdhsa_round_robin_scheduling 0
		.amdhsa_exception_fp_ieee_invalid_op 0
		.amdhsa_exception_fp_denorm_src 0
		.amdhsa_exception_fp_ieee_div_zero 0
		.amdhsa_exception_fp_ieee_overflow 0
		.amdhsa_exception_fp_ieee_underflow 0
		.amdhsa_exception_fp_ieee_inexact 0
		.amdhsa_exception_int_div_zero 0
	.end_amdhsa_kernel
	.section	.text._Z19shuffle_down_kernelILj128ELj128EiEvPT1_S1_,"axG",@progbits,_Z19shuffle_down_kernelILj128ELj128EiEvPT1_S1_,comdat
.Lfunc_end66:
	.size	_Z19shuffle_down_kernelILj128ELj128EiEvPT1_S1_, .Lfunc_end66-_Z19shuffle_down_kernelILj128ELj128EiEvPT1_S1_
                                        ; -- End function
	.set _Z19shuffle_down_kernelILj128ELj128EiEvPT1_S1_.num_vgpr, 7
	.set _Z19shuffle_down_kernelILj128ELj128EiEvPT1_S1_.num_agpr, 0
	.set _Z19shuffle_down_kernelILj128ELj128EiEvPT1_S1_.numbered_sgpr, 4
	.set _Z19shuffle_down_kernelILj128ELj128EiEvPT1_S1_.num_named_barrier, 0
	.set _Z19shuffle_down_kernelILj128ELj128EiEvPT1_S1_.private_seg_size, 0
	.set _Z19shuffle_down_kernelILj128ELj128EiEvPT1_S1_.uses_vcc, 1
	.set _Z19shuffle_down_kernelILj128ELj128EiEvPT1_S1_.uses_flat_scratch, 0
	.set _Z19shuffle_down_kernelILj128ELj128EiEvPT1_S1_.has_dyn_sized_stack, 0
	.set _Z19shuffle_down_kernelILj128ELj128EiEvPT1_S1_.has_recursion, 0
	.set _Z19shuffle_down_kernelILj128ELj128EiEvPT1_S1_.has_indirect_call, 0
	.section	.AMDGPU.csdata,"",@progbits
; Kernel info:
; codeLenInByte = 3712
; TotalNumSgprs: 6
; NumVgprs: 7
; ScratchSize: 0
; MemoryBound: 1
; FloatMode: 240
; IeeeMode: 1
; LDSByteSize: 512 bytes/workgroup (compile time only)
; SGPRBlocks: 0
; VGPRBlocks: 0
; NumSGPRsForWavesPerEU: 6
; NumVGPRsForWavesPerEU: 7
; Occupancy: 16
; WaveLimiterHint : 1
; COMPUTE_PGM_RSRC2:SCRATCH_EN: 0
; COMPUTE_PGM_RSRC2:USER_SGPR: 2
; COMPUTE_PGM_RSRC2:TRAP_HANDLER: 0
; COMPUTE_PGM_RSRC2:TGID_X_EN: 1
; COMPUTE_PGM_RSRC2:TGID_Y_EN: 0
; COMPUTE_PGM_RSRC2:TGID_Z_EN: 0
; COMPUTE_PGM_RSRC2:TIDIG_COMP_CNT: 0
	.section	.text._Z19shuffle_down_kernelILj64ELj128EiEvPT1_S1_,"axG",@progbits,_Z19shuffle_down_kernelILj64ELj128EiEvPT1_S1_,comdat
	.protected	_Z19shuffle_down_kernelILj64ELj128EiEvPT1_S1_ ; -- Begin function _Z19shuffle_down_kernelILj64ELj128EiEvPT1_S1_
	.globl	_Z19shuffle_down_kernelILj64ELj128EiEvPT1_S1_
	.p2align	8
	.type	_Z19shuffle_down_kernelILj64ELj128EiEvPT1_S1_,@function
_Z19shuffle_down_kernelILj64ELj128EiEvPT1_S1_: ; @_Z19shuffle_down_kernelILj64ELj128EiEvPT1_S1_
; %bb.0:
	s_load_b128 s[0:3], s[0:1], 0x0
	v_dual_mov_b32 v2, 0 :: v_dual_lshlrev_b32 v1, 7, v0
	s_delay_alu instid0(VALU_DEP_1) | instskip(NEXT) | instid1(VALU_DEP_1)
	v_lshl_or_b32 v1, ttmp9, 13, v1
	v_lshlrev_b64_e32 v[1:2], 2, v[1:2]
	s_wait_kmcnt 0x0
	s_delay_alu instid0(VALU_DEP_1) | instskip(NEXT) | instid1(VALU_DEP_1)
	v_add_co_u32 v3, vcc_lo, s0, v1
	v_add_co_ci_u32_e64 v4, null, s1, v2, vcc_lo
	v_add_co_u32 v1, vcc_lo, s2, v1
	s_wait_alu 0xfffd
	v_add_co_ci_u32_e64 v2, null, s3, v2, vcc_lo
	global_load_b64 v[5:6], v[3:4], off
	s_mov_b32 s0, exec_lo
	s_wait_loadcnt 0x0
	global_store_b32 v[1:2], v6, off
	global_load_b32 v6, v[3:4], off offset:8
	s_wait_loadcnt 0x0
	global_store_b32 v[1:2], v6, off offset:4
	global_load_b32 v6, v[3:4], off offset:12
	s_wait_loadcnt 0x0
	global_store_b32 v[1:2], v6, off offset:8
	;; [unrolled: 3-line block ×125, first 2 shown]
	global_load_b32 v4, v[3:4], off offset:508
	v_lshlrev_b32_e32 v3, 2, v0
	ds_store_b32 v3, v5
	s_wait_loadcnt 0x0
	global_store_b32 v[1:2], v4, off offset:504
	s_wait_storecnt_dscnt 0x0
	s_barrier_signal -1
	s_barrier_wait -1
	global_inv scope:SCOPE_SE
	v_cmpx_gt_u32_e32 63, v0
	s_cbranch_execz .LBB67_2
; %bb.1:
	ds_load_b32 v0, v3 offset:4
	s_wait_dscnt 0x0
	global_store_b32 v[1:2], v0, off offset:508
.LBB67_2:
	s_endpgm
	.section	.rodata,"a",@progbits
	.p2align	6, 0x0
	.amdhsa_kernel _Z19shuffle_down_kernelILj64ELj128EiEvPT1_S1_
		.amdhsa_group_segment_fixed_size 256
		.amdhsa_private_segment_fixed_size 0
		.amdhsa_kernarg_size 16
		.amdhsa_user_sgpr_count 2
		.amdhsa_user_sgpr_dispatch_ptr 0
		.amdhsa_user_sgpr_queue_ptr 0
		.amdhsa_user_sgpr_kernarg_segment_ptr 1
		.amdhsa_user_sgpr_dispatch_id 0
		.amdhsa_user_sgpr_private_segment_size 0
		.amdhsa_wavefront_size32 1
		.amdhsa_uses_dynamic_stack 0
		.amdhsa_enable_private_segment 0
		.amdhsa_system_sgpr_workgroup_id_x 1
		.amdhsa_system_sgpr_workgroup_id_y 0
		.amdhsa_system_sgpr_workgroup_id_z 0
		.amdhsa_system_sgpr_workgroup_info 0
		.amdhsa_system_vgpr_workitem_id 0
		.amdhsa_next_free_vgpr 7
		.amdhsa_next_free_sgpr 4
		.amdhsa_reserve_vcc 1
		.amdhsa_float_round_mode_32 0
		.amdhsa_float_round_mode_16_64 0
		.amdhsa_float_denorm_mode_32 3
		.amdhsa_float_denorm_mode_16_64 3
		.amdhsa_fp16_overflow 0
		.amdhsa_workgroup_processor_mode 1
		.amdhsa_memory_ordered 1
		.amdhsa_forward_progress 1
		.amdhsa_inst_pref_size 29
		.amdhsa_round_robin_scheduling 0
		.amdhsa_exception_fp_ieee_invalid_op 0
		.amdhsa_exception_fp_denorm_src 0
		.amdhsa_exception_fp_ieee_div_zero 0
		.amdhsa_exception_fp_ieee_overflow 0
		.amdhsa_exception_fp_ieee_underflow 0
		.amdhsa_exception_fp_ieee_inexact 0
		.amdhsa_exception_int_div_zero 0
	.end_amdhsa_kernel
	.section	.text._Z19shuffle_down_kernelILj64ELj128EiEvPT1_S1_,"axG",@progbits,_Z19shuffle_down_kernelILj64ELj128EiEvPT1_S1_,comdat
.Lfunc_end67:
	.size	_Z19shuffle_down_kernelILj64ELj128EiEvPT1_S1_, .Lfunc_end67-_Z19shuffle_down_kernelILj64ELj128EiEvPT1_S1_
                                        ; -- End function
	.set _Z19shuffle_down_kernelILj64ELj128EiEvPT1_S1_.num_vgpr, 7
	.set _Z19shuffle_down_kernelILj64ELj128EiEvPT1_S1_.num_agpr, 0
	.set _Z19shuffle_down_kernelILj64ELj128EiEvPT1_S1_.numbered_sgpr, 4
	.set _Z19shuffle_down_kernelILj64ELj128EiEvPT1_S1_.num_named_barrier, 0
	.set _Z19shuffle_down_kernelILj64ELj128EiEvPT1_S1_.private_seg_size, 0
	.set _Z19shuffle_down_kernelILj64ELj128EiEvPT1_S1_.uses_vcc, 1
	.set _Z19shuffle_down_kernelILj64ELj128EiEvPT1_S1_.uses_flat_scratch, 0
	.set _Z19shuffle_down_kernelILj64ELj128EiEvPT1_S1_.has_dyn_sized_stack, 0
	.set _Z19shuffle_down_kernelILj64ELj128EiEvPT1_S1_.has_recursion, 0
	.set _Z19shuffle_down_kernelILj64ELj128EiEvPT1_S1_.has_indirect_call, 0
	.section	.AMDGPU.csdata,"",@progbits
; Kernel info:
; codeLenInByte = 3708
; TotalNumSgprs: 6
; NumVgprs: 7
; ScratchSize: 0
; MemoryBound: 1
; FloatMode: 240
; IeeeMode: 1
; LDSByteSize: 256 bytes/workgroup (compile time only)
; SGPRBlocks: 0
; VGPRBlocks: 0
; NumSGPRsForWavesPerEU: 6
; NumVGPRsForWavesPerEU: 7
; Occupancy: 16
; WaveLimiterHint : 1
; COMPUTE_PGM_RSRC2:SCRATCH_EN: 0
; COMPUTE_PGM_RSRC2:USER_SGPR: 2
; COMPUTE_PGM_RSRC2:TRAP_HANDLER: 0
; COMPUTE_PGM_RSRC2:TGID_X_EN: 1
; COMPUTE_PGM_RSRC2:TGID_Y_EN: 0
; COMPUTE_PGM_RSRC2:TGID_Z_EN: 0
; COMPUTE_PGM_RSRC2:TIDIG_COMP_CNT: 0
	.section	.AMDGPU.gpr_maximums,"",@progbits
	.set amdgpu.max_num_vgpr, 0
	.set amdgpu.max_num_agpr, 0
	.set amdgpu.max_num_sgpr, 0
	.section	.AMDGPU.csdata,"",@progbits
	.type	__hip_cuid_de93bbfd34bc32af,@object ; @__hip_cuid_de93bbfd34bc32af
	.section	.bss,"aw",@nobits
	.globl	__hip_cuid_de93bbfd34bc32af
__hip_cuid_de93bbfd34bc32af:
	.byte	0                               ; 0x0
	.size	__hip_cuid_de93bbfd34bc32af, 1

	.ident	"AMD clang version 22.0.0git (https://github.com/RadeonOpenCompute/llvm-project roc-7.2.4 26084 f58b06dce1f9c15707c5f808fd002e18c2accf7e)"
	.section	".note.GNU-stack","",@progbits
	.addrsig
	.addrsig_sym __hip_cuid_de93bbfd34bc32af
	.amdgpu_metadata
---
amdhsa.kernels:
  - .args:
      - .address_space:  global
        .offset:         0
        .size:           8
        .value_kind:     global_buffer
      - .address_space:  global
        .offset:         8
        .size:           8
        .value_kind:     global_buffer
      - .offset:         16
        .size:           4
        .value_kind:     by_value
    .group_segment_fixed_size: 64
    .kernarg_segment_align: 8
    .kernarg_segment_size: 20
    .language:       OpenCL C
    .language_version:
      - 2
      - 0
    .max_flat_workgroup_size: 32
    .name:           _Z21shuffle_offset_kernelILj32E12hip_bfloat16EvPT0_S2_i
    .private_segment_fixed_size: 0
    .sgpr_count:     10
    .sgpr_spill_count: 0
    .symbol:         _Z21shuffle_offset_kernelILj32E12hip_bfloat16EvPT0_S2_i.kd
    .uniform_work_group_size: 1
    .uses_dynamic_stack: false
    .vgpr_count:     5
    .vgpr_spill_count: 0
    .wavefront_size: 32
    .workgroup_processor_mode: 1
  - .args:
      - .address_space:  global
        .offset:         0
        .size:           8
        .value_kind:     global_buffer
      - .address_space:  global
        .offset:         8
        .size:           8
        .value_kind:     global_buffer
      - .offset:         16
        .size:           4
        .value_kind:     by_value
    .group_segment_fixed_size: 64
    .kernarg_segment_align: 8
    .kernarg_segment_size: 20
    .language:       OpenCL C
    .language_version:
      - 2
      - 0
    .max_flat_workgroup_size: 32
    .name:           _Z21shuffle_offset_kernelILj32E6__halfEvPT0_S2_i
    .private_segment_fixed_size: 0
    .sgpr_count:     10
    .sgpr_spill_count: 0
    .symbol:         _Z21shuffle_offset_kernelILj32E6__halfEvPT0_S2_i.kd
    .uniform_work_group_size: 1
    .uses_dynamic_stack: false
    .vgpr_count:     5
    .vgpr_spill_count: 0
    .wavefront_size: 32
    .workgroup_processor_mode: 1
  - .args:
      - .address_space:  global
        .offset:         0
        .size:           8
        .value_kind:     global_buffer
      - .address_space:  global
        .offset:         8
        .size:           8
        .value_kind:     global_buffer
      - .offset:         16
        .size:           4
        .value_kind:     by_value
    .group_segment_fixed_size: 128
    .kernarg_segment_align: 8
    .kernarg_segment_size: 20
    .language:       OpenCL C
    .language_version:
      - 2
      - 0
    .max_flat_workgroup_size: 32
    .name:           _Z21shuffle_offset_kernelILj32EfEvPT0_S1_i
    .private_segment_fixed_size: 0
    .sgpr_count:     10
    .sgpr_spill_count: 0
    .symbol:         _Z21shuffle_offset_kernelILj32EfEvPT0_S1_i.kd
    .uniform_work_group_size: 1
    .uses_dynamic_stack: false
    .vgpr_count:     5
    .vgpr_spill_count: 0
    .wavefront_size: 32
    .workgroup_processor_mode: 1
  - .args:
      - .address_space:  global
        .offset:         0
        .size:           8
        .value_kind:     global_buffer
      - .address_space:  global
        .offset:         8
        .size:           8
        .value_kind:     global_buffer
      - .offset:         16
        .size:           4
        .value_kind:     by_value
    .group_segment_fixed_size: 3016
    .kernarg_segment_align: 8
    .kernarg_segment_size: 20
    .language:       OpenCL C
    .language_version:
      - 2
      - 0
    .max_flat_workgroup_size: 377
    .name:           _Z21shuffle_offset_kernelILj377ElEvPT0_S1_i
    .private_segment_fixed_size: 0
    .sgpr_count:     10
    .sgpr_spill_count: 0
    .symbol:         _Z21shuffle_offset_kernelILj377ElEvPT0_S1_i.kd
    .uniform_work_group_size: 1
    .uses_dynamic_stack: false
    .vgpr_count:     6
    .vgpr_spill_count: 0
    .wavefront_size: 32
    .workgroup_processor_mode: 1
  - .args:
      - .address_space:  global
        .offset:         0
        .size:           8
        .value_kind:     global_buffer
      - .address_space:  global
        .offset:         8
        .size:           8
        .value_kind:     global_buffer
      - .offset:         16
        .size:           4
        .value_kind:     by_value
    .group_segment_fixed_size: 2048
    .kernarg_segment_align: 8
    .kernarg_segment_size: 20
    .language:       OpenCL C
    .language_version:
      - 2
      - 0
    .max_flat_workgroup_size: 256
    .name:           _Z21shuffle_offset_kernelILj256ElEvPT0_S1_i
    .private_segment_fixed_size: 0
    .sgpr_count:     10
    .sgpr_spill_count: 0
    .symbol:         _Z21shuffle_offset_kernelILj256ElEvPT0_S1_i.kd
    .uniform_work_group_size: 1
    .uses_dynamic_stack: false
    .vgpr_count:     6
    .vgpr_spill_count: 0
    .wavefront_size: 32
    .workgroup_processor_mode: 1
  - .args:
      - .address_space:  global
        .offset:         0
        .size:           8
        .value_kind:     global_buffer
      - .address_space:  global
        .offset:         8
        .size:           8
        .value_kind:     global_buffer
      - .offset:         16
        .size:           4
        .value_kind:     by_value
    .group_segment_fixed_size: 512
    .kernarg_segment_align: 8
    .kernarg_segment_size: 20
    .language:       OpenCL C
    .language_version:
      - 2
      - 0
    .max_flat_workgroup_size: 64
    .name:           _Z21shuffle_offset_kernelILj64ElEvPT0_S1_i
    .private_segment_fixed_size: 0
    .sgpr_count:     10
    .sgpr_spill_count: 0
    .symbol:         _Z21shuffle_offset_kernelILj64ElEvPT0_S1_i.kd
    .uniform_work_group_size: 1
    .uses_dynamic_stack: false
    .vgpr_count:     6
    .vgpr_spill_count: 0
    .wavefront_size: 32
    .workgroup_processor_mode: 1
  - .args:
      - .address_space:  global
        .offset:         0
        .size:           8
        .value_kind:     global_buffer
      - .address_space:  global
        .offset:         8
        .size:           8
        .value_kind:     global_buffer
      - .offset:         16
        .size:           4
        .value_kind:     by_value
    .group_segment_fixed_size: 1508
    .kernarg_segment_align: 8
    .kernarg_segment_size: 20
    .language:       OpenCL C
    .language_version:
      - 2
      - 0
    .max_flat_workgroup_size: 377
    .name:           _Z21shuffle_offset_kernelILj377EjEvPT0_S1_i
    .private_segment_fixed_size: 0
    .sgpr_count:     10
    .sgpr_spill_count: 0
    .symbol:         _Z21shuffle_offset_kernelILj377EjEvPT0_S1_i.kd
    .uniform_work_group_size: 1
    .uses_dynamic_stack: false
    .vgpr_count:     5
    .vgpr_spill_count: 0
    .wavefront_size: 32
    .workgroup_processor_mode: 1
  - .args:
      - .address_space:  global
        .offset:         0
        .size:           8
        .value_kind:     global_buffer
      - .address_space:  global
        .offset:         8
        .size:           8
        .value_kind:     global_buffer
      - .offset:         16
        .size:           4
        .value_kind:     by_value
    .group_segment_fixed_size: 1024
    .kernarg_segment_align: 8
    .kernarg_segment_size: 20
    .language:       OpenCL C
    .language_version:
      - 2
      - 0
    .max_flat_workgroup_size: 256
    .name:           _Z21shuffle_offset_kernelILj256EjEvPT0_S1_i
    .private_segment_fixed_size: 0
    .sgpr_count:     10
    .sgpr_spill_count: 0
    .symbol:         _Z21shuffle_offset_kernelILj256EjEvPT0_S1_i.kd
    .uniform_work_group_size: 1
    .uses_dynamic_stack: false
    .vgpr_count:     5
    .vgpr_spill_count: 0
    .wavefront_size: 32
    .workgroup_processor_mode: 1
  - .args:
      - .address_space:  global
        .offset:         0
        .size:           8
        .value_kind:     global_buffer
      - .address_space:  global
        .offset:         8
        .size:           8
        .value_kind:     global_buffer
      - .offset:         16
        .size:           4
        .value_kind:     by_value
    .group_segment_fixed_size: 256
    .kernarg_segment_align: 8
    .kernarg_segment_size: 20
    .language:       OpenCL C
    .language_version:
      - 2
      - 0
    .max_flat_workgroup_size: 64
    .name:           _Z21shuffle_offset_kernelILj64EjEvPT0_S1_i
    .private_segment_fixed_size: 0
    .sgpr_count:     10
    .sgpr_spill_count: 0
    .symbol:         _Z21shuffle_offset_kernelILj64EjEvPT0_S1_i.kd
    .uniform_work_group_size: 1
    .uses_dynamic_stack: false
    .vgpr_count:     5
    .vgpr_spill_count: 0
    .wavefront_size: 32
    .workgroup_processor_mode: 1
  - .args:
      - .address_space:  global
        .offset:         0
        .size:           8
        .value_kind:     global_buffer
      - .address_space:  global
        .offset:         8
        .size:           8
        .value_kind:     global_buffer
      - .offset:         16
        .size:           4
        .value_kind:     by_value
    .group_segment_fixed_size: 1020
    .kernarg_segment_align: 8
    .kernarg_segment_size: 20
    .language:       OpenCL C
    .language_version:
      - 2
      - 0
    .max_flat_workgroup_size: 255
    .name:           _Z21shuffle_offset_kernelILj255EiEvPT0_S1_i
    .private_segment_fixed_size: 0
    .sgpr_count:     10
    .sgpr_spill_count: 0
    .symbol:         _Z21shuffle_offset_kernelILj255EiEvPT0_S1_i.kd
    .uniform_work_group_size: 1
    .uses_dynamic_stack: false
    .vgpr_count:     5
    .vgpr_spill_count: 0
    .wavefront_size: 32
    .workgroup_processor_mode: 1
  - .args:
      - .address_space:  global
        .offset:         0
        .size:           8
        .value_kind:     global_buffer
      - .address_space:  global
        .offset:         8
        .size:           8
        .value_kind:     global_buffer
      - .offset:         16
        .size:           4
        .value_kind:     by_value
    .group_segment_fixed_size: 648
    .kernarg_segment_align: 8
    .kernarg_segment_size: 20
    .language:       OpenCL C
    .language_version:
      - 2
      - 0
    .max_flat_workgroup_size: 162
    .name:           _Z21shuffle_offset_kernelILj162EiEvPT0_S1_i
    .private_segment_fixed_size: 0
    .sgpr_count:     10
    .sgpr_spill_count: 0
    .symbol:         _Z21shuffle_offset_kernelILj162EiEvPT0_S1_i.kd
    .uniform_work_group_size: 1
    .uses_dynamic_stack: false
    .vgpr_count:     5
    .vgpr_spill_count: 0
    .wavefront_size: 32
    .workgroup_processor_mode: 1
  - .args:
      - .address_space:  global
        .offset:         0
        .size:           8
        .value_kind:     global_buffer
      - .address_space:  global
        .offset:         8
        .size:           8
        .value_kind:     global_buffer
      - .offset:         16
        .size:           4
        .value_kind:     by_value
    .group_segment_fixed_size: 148
    .kernarg_segment_align: 8
    .kernarg_segment_size: 20
    .language:       OpenCL C
    .language_version:
      - 2
      - 0
    .max_flat_workgroup_size: 37
    .name:           _Z21shuffle_offset_kernelILj37EiEvPT0_S1_i
    .private_segment_fixed_size: 0
    .sgpr_count:     10
    .sgpr_spill_count: 0
    .symbol:         _Z21shuffle_offset_kernelILj37EiEvPT0_S1_i.kd
    .uniform_work_group_size: 1
    .uses_dynamic_stack: false
    .vgpr_count:     5
    .vgpr_spill_count: 0
    .wavefront_size: 32
    .workgroup_processor_mode: 1
  - .args:
      - .address_space:  global
        .offset:         0
        .size:           8
        .value_kind:     global_buffer
      - .address_space:  global
        .offset:         8
        .size:           8
        .value_kind:     global_buffer
      - .offset:         16
        .size:           4
        .value_kind:     by_value
    .group_segment_fixed_size: 260
    .kernarg_segment_align: 8
    .kernarg_segment_size: 20
    .language:       OpenCL C
    .language_version:
      - 2
      - 0
    .max_flat_workgroup_size: 65
    .name:           _Z21shuffle_offset_kernelILj65EiEvPT0_S1_i
    .private_segment_fixed_size: 0
    .sgpr_count:     10
    .sgpr_spill_count: 0
    .symbol:         _Z21shuffle_offset_kernelILj65EiEvPT0_S1_i.kd
    .uniform_work_group_size: 1
    .uses_dynamic_stack: false
    .vgpr_count:     5
    .vgpr_spill_count: 0
    .wavefront_size: 32
    .workgroup_processor_mode: 1
  - .args:
      - .address_space:  global
        .offset:         0
        .size:           8
        .value_kind:     global_buffer
      - .address_space:  global
        .offset:         8
        .size:           8
        .value_kind:     global_buffer
      - .offset:         16
        .size:           4
        .value_kind:     by_value
    .group_segment_fixed_size: 2048
    .kernarg_segment_align: 8
    .kernarg_segment_size: 20
    .language:       OpenCL C
    .language_version:
      - 2
      - 0
    .max_flat_workgroup_size: 512
    .name:           _Z21shuffle_offset_kernelILj512EiEvPT0_S1_i
    .private_segment_fixed_size: 0
    .sgpr_count:     10
    .sgpr_spill_count: 0
    .symbol:         _Z21shuffle_offset_kernelILj512EiEvPT0_S1_i.kd
    .uniform_work_group_size: 1
    .uses_dynamic_stack: false
    .vgpr_count:     5
    .vgpr_spill_count: 0
    .wavefront_size: 32
    .workgroup_processor_mode: 1
  - .args:
      - .address_space:  global
        .offset:         0
        .size:           8
        .value_kind:     global_buffer
      - .address_space:  global
        .offset:         8
        .size:           8
        .value_kind:     global_buffer
      - .offset:         16
        .size:           4
        .value_kind:     by_value
    .group_segment_fixed_size: 1024
    .kernarg_segment_align: 8
    .kernarg_segment_size: 20
    .language:       OpenCL C
    .language_version:
      - 2
      - 0
    .max_flat_workgroup_size: 256
    .name:           _Z21shuffle_offset_kernelILj256EiEvPT0_S1_i
    .private_segment_fixed_size: 0
    .sgpr_count:     10
    .sgpr_spill_count: 0
    .symbol:         _Z21shuffle_offset_kernelILj256EiEvPT0_S1_i.kd
    .uniform_work_group_size: 1
    .uses_dynamic_stack: false
    .vgpr_count:     5
    .vgpr_spill_count: 0
    .wavefront_size: 32
    .workgroup_processor_mode: 1
  - .args:
      - .address_space:  global
        .offset:         0
        .size:           8
        .value_kind:     global_buffer
      - .address_space:  global
        .offset:         8
        .size:           8
        .value_kind:     global_buffer
      - .offset:         16
        .size:           4
        .value_kind:     by_value
    .group_segment_fixed_size: 512
    .kernarg_segment_align: 8
    .kernarg_segment_size: 20
    .language:       OpenCL C
    .language_version:
      - 2
      - 0
    .max_flat_workgroup_size: 128
    .name:           _Z21shuffle_offset_kernelILj128EiEvPT0_S1_i
    .private_segment_fixed_size: 0
    .sgpr_count:     10
    .sgpr_spill_count: 0
    .symbol:         _Z21shuffle_offset_kernelILj128EiEvPT0_S1_i.kd
    .uniform_work_group_size: 1
    .uses_dynamic_stack: false
    .vgpr_count:     5
    .vgpr_spill_count: 0
    .wavefront_size: 32
    .workgroup_processor_mode: 1
  - .args:
      - .address_space:  global
        .offset:         0
        .size:           8
        .value_kind:     global_buffer
      - .address_space:  global
        .offset:         8
        .size:           8
        .value_kind:     global_buffer
      - .offset:         16
        .size:           4
        .value_kind:     by_value
    .group_segment_fixed_size: 256
    .kernarg_segment_align: 8
    .kernarg_segment_size: 20
    .language:       OpenCL C
    .language_version:
      - 2
      - 0
    .max_flat_workgroup_size: 64
    .name:           _Z21shuffle_offset_kernelILj64EiEvPT0_S1_i
    .private_segment_fixed_size: 0
    .sgpr_count:     10
    .sgpr_spill_count: 0
    .symbol:         _Z21shuffle_offset_kernelILj64EiEvPT0_S1_i.kd
    .uniform_work_group_size: 1
    .uses_dynamic_stack: false
    .vgpr_count:     5
    .vgpr_spill_count: 0
    .wavefront_size: 32
    .workgroup_processor_mode: 1
  - .args:
      - .address_space:  global
        .offset:         0
        .size:           8
        .value_kind:     global_buffer
      - .address_space:  global
        .offset:         8
        .size:           8
        .value_kind:     global_buffer
      - .offset:         16
        .size:           4
        .value_kind:     by_value
    .group_segment_fixed_size: 64
    .kernarg_segment_align: 8
    .kernarg_segment_size: 20
    .language:       OpenCL C
    .language_version:
      - 2
      - 0
    .max_flat_workgroup_size: 32
    .name:           _Z21shuffle_rotate_kernelILj32E12hip_bfloat16EvPT0_S2_i
    .private_segment_fixed_size: 0
    .sgpr_count:     10
    .sgpr_spill_count: 0
    .symbol:         _Z21shuffle_rotate_kernelILj32E12hip_bfloat16EvPT0_S2_i.kd
    .uniform_work_group_size: 1
    .uses_dynamic_stack: false
    .vgpr_count:     6
    .vgpr_spill_count: 0
    .wavefront_size: 32
    .workgroup_processor_mode: 1
  - .args:
      - .address_space:  global
        .offset:         0
        .size:           8
        .value_kind:     global_buffer
      - .address_space:  global
        .offset:         8
        .size:           8
        .value_kind:     global_buffer
      - .offset:         16
        .size:           4
        .value_kind:     by_value
    .group_segment_fixed_size: 64
    .kernarg_segment_align: 8
    .kernarg_segment_size: 20
    .language:       OpenCL C
    .language_version:
      - 2
      - 0
    .max_flat_workgroup_size: 32
    .name:           _Z21shuffle_rotate_kernelILj32E6__halfEvPT0_S2_i
    .private_segment_fixed_size: 0
    .sgpr_count:     10
    .sgpr_spill_count: 0
    .symbol:         _Z21shuffle_rotate_kernelILj32E6__halfEvPT0_S2_i.kd
    .uniform_work_group_size: 1
    .uses_dynamic_stack: false
    .vgpr_count:     6
    .vgpr_spill_count: 0
    .wavefront_size: 32
    .workgroup_processor_mode: 1
  - .args:
      - .address_space:  global
        .offset:         0
        .size:           8
        .value_kind:     global_buffer
      - .address_space:  global
        .offset:         8
        .size:           8
        .value_kind:     global_buffer
      - .offset:         16
        .size:           4
        .value_kind:     by_value
    .group_segment_fixed_size: 128
    .kernarg_segment_align: 8
    .kernarg_segment_size: 20
    .language:       OpenCL C
    .language_version:
      - 2
      - 0
    .max_flat_workgroup_size: 32
    .name:           _Z21shuffle_rotate_kernelILj32EfEvPT0_S1_i
    .private_segment_fixed_size: 0
    .sgpr_count:     10
    .sgpr_spill_count: 0
    .symbol:         _Z21shuffle_rotate_kernelILj32EfEvPT0_S1_i.kd
    .uniform_work_group_size: 1
    .uses_dynamic_stack: false
    .vgpr_count:     6
    .vgpr_spill_count: 0
    .wavefront_size: 32
    .workgroup_processor_mode: 1
  - .args:
      - .address_space:  global
        .offset:         0
        .size:           8
        .value_kind:     global_buffer
      - .address_space:  global
        .offset:         8
        .size:           8
        .value_kind:     global_buffer
      - .offset:         16
        .size:           4
        .value_kind:     by_value
    .group_segment_fixed_size: 3016
    .kernarg_segment_align: 8
    .kernarg_segment_size: 20
    .language:       OpenCL C
    .language_version:
      - 2
      - 0
    .max_flat_workgroup_size: 377
    .name:           _Z21shuffle_rotate_kernelILj377ElEvPT0_S1_i
    .private_segment_fixed_size: 0
    .sgpr_count:     10
    .sgpr_spill_count: 0
    .symbol:         _Z21shuffle_rotate_kernelILj377ElEvPT0_S1_i.kd
    .uniform_work_group_size: 1
    .uses_dynamic_stack: false
    .vgpr_count:     8
    .vgpr_spill_count: 0
    .wavefront_size: 32
    .workgroup_processor_mode: 1
  - .args:
      - .address_space:  global
        .offset:         0
        .size:           8
        .value_kind:     global_buffer
      - .address_space:  global
        .offset:         8
        .size:           8
        .value_kind:     global_buffer
      - .offset:         16
        .size:           4
        .value_kind:     by_value
    .group_segment_fixed_size: 2048
    .kernarg_segment_align: 8
    .kernarg_segment_size: 20
    .language:       OpenCL C
    .language_version:
      - 2
      - 0
    .max_flat_workgroup_size: 256
    .name:           _Z21shuffle_rotate_kernelILj256ElEvPT0_S1_i
    .private_segment_fixed_size: 0
    .sgpr_count:     10
    .sgpr_spill_count: 0
    .symbol:         _Z21shuffle_rotate_kernelILj256ElEvPT0_S1_i.kd
    .uniform_work_group_size: 1
    .uses_dynamic_stack: false
    .vgpr_count:     7
    .vgpr_spill_count: 0
    .wavefront_size: 32
    .workgroup_processor_mode: 1
  - .args:
      - .address_space:  global
        .offset:         0
        .size:           8
        .value_kind:     global_buffer
      - .address_space:  global
        .offset:         8
        .size:           8
        .value_kind:     global_buffer
      - .offset:         16
        .size:           4
        .value_kind:     by_value
    .group_segment_fixed_size: 512
    .kernarg_segment_align: 8
    .kernarg_segment_size: 20
    .language:       OpenCL C
    .language_version:
      - 2
      - 0
    .max_flat_workgroup_size: 64
    .name:           _Z21shuffle_rotate_kernelILj64ElEvPT0_S1_i
    .private_segment_fixed_size: 0
    .sgpr_count:     10
    .sgpr_spill_count: 0
    .symbol:         _Z21shuffle_rotate_kernelILj64ElEvPT0_S1_i.kd
    .uniform_work_group_size: 1
    .uses_dynamic_stack: false
    .vgpr_count:     7
    .vgpr_spill_count: 0
    .wavefront_size: 32
    .workgroup_processor_mode: 1
  - .args:
      - .address_space:  global
        .offset:         0
        .size:           8
        .value_kind:     global_buffer
      - .address_space:  global
        .offset:         8
        .size:           8
        .value_kind:     global_buffer
      - .offset:         16
        .size:           4
        .value_kind:     by_value
    .group_segment_fixed_size: 1508
    .kernarg_segment_align: 8
    .kernarg_segment_size: 20
    .language:       OpenCL C
    .language_version:
      - 2
      - 0
    .max_flat_workgroup_size: 377
    .name:           _Z21shuffle_rotate_kernelILj377EjEvPT0_S1_i
    .private_segment_fixed_size: 0
    .sgpr_count:     10
    .sgpr_spill_count: 0
    .symbol:         _Z21shuffle_rotate_kernelILj377EjEvPT0_S1_i.kd
    .uniform_work_group_size: 1
    .uses_dynamic_stack: false
    .vgpr_count:     7
    .vgpr_spill_count: 0
    .wavefront_size: 32
    .workgroup_processor_mode: 1
  - .args:
      - .address_space:  global
        .offset:         0
        .size:           8
        .value_kind:     global_buffer
      - .address_space:  global
        .offset:         8
        .size:           8
        .value_kind:     global_buffer
      - .offset:         16
        .size:           4
        .value_kind:     by_value
    .group_segment_fixed_size: 1024
    .kernarg_segment_align: 8
    .kernarg_segment_size: 20
    .language:       OpenCL C
    .language_version:
      - 2
      - 0
    .max_flat_workgroup_size: 256
    .name:           _Z21shuffle_rotate_kernelILj256EjEvPT0_S1_i
    .private_segment_fixed_size: 0
    .sgpr_count:     10
    .sgpr_spill_count: 0
    .symbol:         _Z21shuffle_rotate_kernelILj256EjEvPT0_S1_i.kd
    .uniform_work_group_size: 1
    .uses_dynamic_stack: false
    .vgpr_count:     6
    .vgpr_spill_count: 0
    .wavefront_size: 32
    .workgroup_processor_mode: 1
  - .args:
      - .address_space:  global
        .offset:         0
        .size:           8
        .value_kind:     global_buffer
      - .address_space:  global
        .offset:         8
        .size:           8
        .value_kind:     global_buffer
      - .offset:         16
        .size:           4
        .value_kind:     by_value
    .group_segment_fixed_size: 256
    .kernarg_segment_align: 8
    .kernarg_segment_size: 20
    .language:       OpenCL C
    .language_version:
      - 2
      - 0
    .max_flat_workgroup_size: 64
    .name:           _Z21shuffle_rotate_kernelILj64EjEvPT0_S1_i
    .private_segment_fixed_size: 0
    .sgpr_count:     10
    .sgpr_spill_count: 0
    .symbol:         _Z21shuffle_rotate_kernelILj64EjEvPT0_S1_i.kd
    .uniform_work_group_size: 1
    .uses_dynamic_stack: false
    .vgpr_count:     6
    .vgpr_spill_count: 0
    .wavefront_size: 32
    .workgroup_processor_mode: 1
  - .args:
      - .address_space:  global
        .offset:         0
        .size:           8
        .value_kind:     global_buffer
      - .address_space:  global
        .offset:         8
        .size:           8
        .value_kind:     global_buffer
      - .offset:         16
        .size:           4
        .value_kind:     by_value
    .group_segment_fixed_size: 1020
    .kernarg_segment_align: 8
    .kernarg_segment_size: 20
    .language:       OpenCL C
    .language_version:
      - 2
      - 0
    .max_flat_workgroup_size: 255
    .name:           _Z21shuffle_rotate_kernelILj255EiEvPT0_S1_i
    .private_segment_fixed_size: 0
    .sgpr_count:     10
    .sgpr_spill_count: 0
    .symbol:         _Z21shuffle_rotate_kernelILj255EiEvPT0_S1_i.kd
    .uniform_work_group_size: 1
    .uses_dynamic_stack: false
    .vgpr_count:     7
    .vgpr_spill_count: 0
    .wavefront_size: 32
    .workgroup_processor_mode: 1
  - .args:
      - .address_space:  global
        .offset:         0
        .size:           8
        .value_kind:     global_buffer
      - .address_space:  global
        .offset:         8
        .size:           8
        .value_kind:     global_buffer
      - .offset:         16
        .size:           4
        .value_kind:     by_value
    .group_segment_fixed_size: 648
    .kernarg_segment_align: 8
    .kernarg_segment_size: 20
    .language:       OpenCL C
    .language_version:
      - 2
      - 0
    .max_flat_workgroup_size: 162
    .name:           _Z21shuffle_rotate_kernelILj162EiEvPT0_S1_i
    .private_segment_fixed_size: 0
    .sgpr_count:     10
    .sgpr_spill_count: 0
    .symbol:         _Z21shuffle_rotate_kernelILj162EiEvPT0_S1_i.kd
    .uniform_work_group_size: 1
    .uses_dynamic_stack: false
    .vgpr_count:     7
    .vgpr_spill_count: 0
    .wavefront_size: 32
    .workgroup_processor_mode: 1
  - .args:
      - .address_space:  global
        .offset:         0
        .size:           8
        .value_kind:     global_buffer
      - .address_space:  global
        .offset:         8
        .size:           8
        .value_kind:     global_buffer
      - .offset:         16
        .size:           4
        .value_kind:     by_value
    .group_segment_fixed_size: 148
    .kernarg_segment_align: 8
    .kernarg_segment_size: 20
    .language:       OpenCL C
    .language_version:
      - 2
      - 0
    .max_flat_workgroup_size: 37
    .name:           _Z21shuffle_rotate_kernelILj37EiEvPT0_S1_i
    .private_segment_fixed_size: 0
    .sgpr_count:     10
    .sgpr_spill_count: 0
    .symbol:         _Z21shuffle_rotate_kernelILj37EiEvPT0_S1_i.kd
    .uniform_work_group_size: 1
    .uses_dynamic_stack: false
    .vgpr_count:     7
    .vgpr_spill_count: 0
    .wavefront_size: 32
    .workgroup_processor_mode: 1
  - .args:
      - .address_space:  global
        .offset:         0
        .size:           8
        .value_kind:     global_buffer
      - .address_space:  global
        .offset:         8
        .size:           8
        .value_kind:     global_buffer
      - .offset:         16
        .size:           4
        .value_kind:     by_value
    .group_segment_fixed_size: 260
    .kernarg_segment_align: 8
    .kernarg_segment_size: 20
    .language:       OpenCL C
    .language_version:
      - 2
      - 0
    .max_flat_workgroup_size: 65
    .name:           _Z21shuffle_rotate_kernelILj65EiEvPT0_S1_i
    .private_segment_fixed_size: 0
    .sgpr_count:     10
    .sgpr_spill_count: 0
    .symbol:         _Z21shuffle_rotate_kernelILj65EiEvPT0_S1_i.kd
    .uniform_work_group_size: 1
    .uses_dynamic_stack: false
    .vgpr_count:     7
    .vgpr_spill_count: 0
    .wavefront_size: 32
    .workgroup_processor_mode: 1
  - .args:
      - .address_space:  global
        .offset:         0
        .size:           8
        .value_kind:     global_buffer
      - .address_space:  global
        .offset:         8
        .size:           8
        .value_kind:     global_buffer
      - .offset:         16
        .size:           4
        .value_kind:     by_value
    .group_segment_fixed_size: 2048
    .kernarg_segment_align: 8
    .kernarg_segment_size: 20
    .language:       OpenCL C
    .language_version:
      - 2
      - 0
    .max_flat_workgroup_size: 512
    .name:           _Z21shuffle_rotate_kernelILj512EiEvPT0_S1_i
    .private_segment_fixed_size: 0
    .sgpr_count:     10
    .sgpr_spill_count: 0
    .symbol:         _Z21shuffle_rotate_kernelILj512EiEvPT0_S1_i.kd
    .uniform_work_group_size: 1
    .uses_dynamic_stack: false
    .vgpr_count:     6
    .vgpr_spill_count: 0
    .wavefront_size: 32
    .workgroup_processor_mode: 1
  - .args:
      - .address_space:  global
        .offset:         0
        .size:           8
        .value_kind:     global_buffer
      - .address_space:  global
        .offset:         8
        .size:           8
        .value_kind:     global_buffer
      - .offset:         16
        .size:           4
        .value_kind:     by_value
    .group_segment_fixed_size: 1024
    .kernarg_segment_align: 8
    .kernarg_segment_size: 20
    .language:       OpenCL C
    .language_version:
      - 2
      - 0
    .max_flat_workgroup_size: 256
    .name:           _Z21shuffle_rotate_kernelILj256EiEvPT0_S1_i
    .private_segment_fixed_size: 0
    .sgpr_count:     10
    .sgpr_spill_count: 0
    .symbol:         _Z21shuffle_rotate_kernelILj256EiEvPT0_S1_i.kd
    .uniform_work_group_size: 1
    .uses_dynamic_stack: false
    .vgpr_count:     6
    .vgpr_spill_count: 0
    .wavefront_size: 32
    .workgroup_processor_mode: 1
  - .args:
      - .address_space:  global
        .offset:         0
        .size:           8
        .value_kind:     global_buffer
      - .address_space:  global
        .offset:         8
        .size:           8
        .value_kind:     global_buffer
      - .offset:         16
        .size:           4
        .value_kind:     by_value
    .group_segment_fixed_size: 512
    .kernarg_segment_align: 8
    .kernarg_segment_size: 20
    .language:       OpenCL C
    .language_version:
      - 2
      - 0
    .max_flat_workgroup_size: 128
    .name:           _Z21shuffle_rotate_kernelILj128EiEvPT0_S1_i
    .private_segment_fixed_size: 0
    .sgpr_count:     10
    .sgpr_spill_count: 0
    .symbol:         _Z21shuffle_rotate_kernelILj128EiEvPT0_S1_i.kd
    .uniform_work_group_size: 1
    .uses_dynamic_stack: false
    .vgpr_count:     6
    .vgpr_spill_count: 0
    .wavefront_size: 32
    .workgroup_processor_mode: 1
  - .args:
      - .address_space:  global
        .offset:         0
        .size:           8
        .value_kind:     global_buffer
      - .address_space:  global
        .offset:         8
        .size:           8
        .value_kind:     global_buffer
      - .offset:         16
        .size:           4
        .value_kind:     by_value
    .group_segment_fixed_size: 256
    .kernarg_segment_align: 8
    .kernarg_segment_size: 20
    .language:       OpenCL C
    .language_version:
      - 2
      - 0
    .max_flat_workgroup_size: 64
    .name:           _Z21shuffle_rotate_kernelILj64EiEvPT0_S1_i
    .private_segment_fixed_size: 0
    .sgpr_count:     10
    .sgpr_spill_count: 0
    .symbol:         _Z21shuffle_rotate_kernelILj64EiEvPT0_S1_i.kd
    .uniform_work_group_size: 1
    .uses_dynamic_stack: false
    .vgpr_count:     6
    .vgpr_spill_count: 0
    .wavefront_size: 32
    .workgroup_processor_mode: 1
  - .args:
      - .address_space:  global
        .offset:         0
        .size:           8
        .value_kind:     global_buffer
      - .address_space:  global
        .offset:         8
        .size:           8
        .value_kind:     global_buffer
    .group_segment_fixed_size: 64
    .kernarg_segment_align: 8
    .kernarg_segment_size: 16
    .language:       OpenCL C
    .language_version:
      - 2
      - 0
    .max_flat_workgroup_size: 32
    .name:           _Z17shuffle_up_kernelILj32ELj128E12hip_bfloat16EvPT1_S2_
    .private_segment_fixed_size: 0
    .sgpr_count:     6
    .sgpr_spill_count: 0
    .symbol:         _Z17shuffle_up_kernelILj32ELj128E12hip_bfloat16EvPT1_S2_.kd
    .uniform_work_group_size: 1
    .uses_dynamic_stack: false
    .vgpr_count:     7
    .vgpr_spill_count: 0
    .wavefront_size: 32
    .workgroup_processor_mode: 1
  - .args:
      - .address_space:  global
        .offset:         0
        .size:           8
        .value_kind:     global_buffer
      - .address_space:  global
        .offset:         8
        .size:           8
        .value_kind:     global_buffer
    .group_segment_fixed_size: 64
    .kernarg_segment_align: 8
    .kernarg_segment_size: 16
    .language:       OpenCL C
    .language_version:
      - 2
      - 0
    .max_flat_workgroup_size: 32
    .name:           _Z17shuffle_up_kernelILj32ELj128E6__halfEvPT1_S2_
    .private_segment_fixed_size: 0
    .sgpr_count:     6
    .sgpr_spill_count: 0
    .symbol:         _Z17shuffle_up_kernelILj32ELj128E6__halfEvPT1_S2_.kd
    .uniform_work_group_size: 1
    .uses_dynamic_stack: false
    .vgpr_count:     7
    .vgpr_spill_count: 0
    .wavefront_size: 32
    .workgroup_processor_mode: 1
  - .args:
      - .address_space:  global
        .offset:         0
        .size:           8
        .value_kind:     global_buffer
      - .address_space:  global
        .offset:         8
        .size:           8
        .value_kind:     global_buffer
    .group_segment_fixed_size: 128
    .kernarg_segment_align: 8
    .kernarg_segment_size: 16
    .language:       OpenCL C
    .language_version:
      - 2
      - 0
    .max_flat_workgroup_size: 32
    .name:           _Z17shuffle_up_kernelILj32ELj128EfEvPT1_S1_
    .private_segment_fixed_size: 0
    .sgpr_count:     6
    .sgpr_spill_count: 0
    .symbol:         _Z17shuffle_up_kernelILj32ELj128EfEvPT1_S1_.kd
    .uniform_work_group_size: 1
    .uses_dynamic_stack: false
    .vgpr_count:     7
    .vgpr_spill_count: 0
    .wavefront_size: 32
    .workgroup_processor_mode: 1
  - .args:
      - .address_space:  global
        .offset:         0
        .size:           8
        .value_kind:     global_buffer
      - .address_space:  global
        .offset:         8
        .size:           8
        .value_kind:     global_buffer
    .group_segment_fixed_size: 3016
    .kernarg_segment_align: 8
    .kernarg_segment_size: 16
    .language:       OpenCL C
    .language_version:
      - 2
      - 0
    .max_flat_workgroup_size: 377
    .name:           _Z17shuffle_up_kernelILj377ELj128ElEvPT1_S1_
    .private_segment_fixed_size: 0
    .sgpr_count:     7
    .sgpr_spill_count: 0
    .symbol:         _Z17shuffle_up_kernelILj377ELj128ElEvPT1_S1_.kd
    .uniform_work_group_size: 1
    .uses_dynamic_stack: false
    .vgpr_count:     9
    .vgpr_spill_count: 0
    .wavefront_size: 32
    .workgroup_processor_mode: 1
  - .args:
      - .address_space:  global
        .offset:         0
        .size:           8
        .value_kind:     global_buffer
      - .address_space:  global
        .offset:         8
        .size:           8
        .value_kind:     global_buffer
    .group_segment_fixed_size: 2048
    .kernarg_segment_align: 8
    .kernarg_segment_size: 16
    .language:       OpenCL C
    .language_version:
      - 2
      - 0
    .max_flat_workgroup_size: 256
    .name:           _Z17shuffle_up_kernelILj256ELj128ElEvPT1_S1_
    .private_segment_fixed_size: 0
    .sgpr_count:     6
    .sgpr_spill_count: 0
    .symbol:         _Z17shuffle_up_kernelILj256ELj128ElEvPT1_S1_.kd
    .uniform_work_group_size: 1
    .uses_dynamic_stack: false
    .vgpr_count:     9
    .vgpr_spill_count: 0
    .wavefront_size: 32
    .workgroup_processor_mode: 1
  - .args:
      - .address_space:  global
        .offset:         0
        .size:           8
        .value_kind:     global_buffer
      - .address_space:  global
        .offset:         8
        .size:           8
        .value_kind:     global_buffer
    .group_segment_fixed_size: 512
    .kernarg_segment_align: 8
    .kernarg_segment_size: 16
    .language:       OpenCL C
    .language_version:
      - 2
      - 0
    .max_flat_workgroup_size: 64
    .name:           _Z17shuffle_up_kernelILj64ELj128ElEvPT1_S1_
    .private_segment_fixed_size: 0
    .sgpr_count:     6
    .sgpr_spill_count: 0
    .symbol:         _Z17shuffle_up_kernelILj64ELj128ElEvPT1_S1_.kd
    .uniform_work_group_size: 1
    .uses_dynamic_stack: false
    .vgpr_count:     9
    .vgpr_spill_count: 0
    .wavefront_size: 32
    .workgroup_processor_mode: 1
  - .args:
      - .address_space:  global
        .offset:         0
        .size:           8
        .value_kind:     global_buffer
      - .address_space:  global
        .offset:         8
        .size:           8
        .value_kind:     global_buffer
    .group_segment_fixed_size: 1508
    .kernarg_segment_align: 8
    .kernarg_segment_size: 16
    .language:       OpenCL C
    .language_version:
      - 2
      - 0
    .max_flat_workgroup_size: 377
    .name:           _Z17shuffle_up_kernelILj377ELj128EjEvPT1_S1_
    .private_segment_fixed_size: 0
    .sgpr_count:     7
    .sgpr_spill_count: 0
    .symbol:         _Z17shuffle_up_kernelILj377ELj128EjEvPT1_S1_.kd
    .uniform_work_group_size: 1
    .uses_dynamic_stack: false
    .vgpr_count:     7
    .vgpr_spill_count: 0
    .wavefront_size: 32
    .workgroup_processor_mode: 1
  - .args:
      - .address_space:  global
        .offset:         0
        .size:           8
        .value_kind:     global_buffer
      - .address_space:  global
        .offset:         8
        .size:           8
        .value_kind:     global_buffer
    .group_segment_fixed_size: 1024
    .kernarg_segment_align: 8
    .kernarg_segment_size: 16
    .language:       OpenCL C
    .language_version:
      - 2
      - 0
    .max_flat_workgroup_size: 256
    .name:           _Z17shuffle_up_kernelILj256ELj128EjEvPT1_S1_
    .private_segment_fixed_size: 0
    .sgpr_count:     6
    .sgpr_spill_count: 0
    .symbol:         _Z17shuffle_up_kernelILj256ELj128EjEvPT1_S1_.kd
    .uniform_work_group_size: 1
    .uses_dynamic_stack: false
    .vgpr_count:     7
    .vgpr_spill_count: 0
    .wavefront_size: 32
    .workgroup_processor_mode: 1
  - .args:
      - .address_space:  global
        .offset:         0
        .size:           8
        .value_kind:     global_buffer
      - .address_space:  global
        .offset:         8
        .size:           8
        .value_kind:     global_buffer
    .group_segment_fixed_size: 256
    .kernarg_segment_align: 8
    .kernarg_segment_size: 16
    .language:       OpenCL C
    .language_version:
      - 2
      - 0
    .max_flat_workgroup_size: 64
    .name:           _Z17shuffle_up_kernelILj64ELj128EjEvPT1_S1_
    .private_segment_fixed_size: 0
    .sgpr_count:     6
    .sgpr_spill_count: 0
    .symbol:         _Z17shuffle_up_kernelILj64ELj128EjEvPT1_S1_.kd
    .uniform_work_group_size: 1
    .uses_dynamic_stack: false
    .vgpr_count:     7
    .vgpr_spill_count: 0
    .wavefront_size: 32
    .workgroup_processor_mode: 1
  - .args:
      - .address_space:  global
        .offset:         0
        .size:           8
        .value_kind:     global_buffer
      - .address_space:  global
        .offset:         8
        .size:           8
        .value_kind:     global_buffer
    .group_segment_fixed_size: 1020
    .kernarg_segment_align: 8
    .kernarg_segment_size: 16
    .language:       OpenCL C
    .language_version:
      - 2
      - 0
    .max_flat_workgroup_size: 255
    .name:           _Z17shuffle_up_kernelILj255ELj128EiEvPT1_S1_
    .private_segment_fixed_size: 0
    .sgpr_count:     7
    .sgpr_spill_count: 0
    .symbol:         _Z17shuffle_up_kernelILj255ELj128EiEvPT1_S1_.kd
    .uniform_work_group_size: 1
    .uses_dynamic_stack: false
    .vgpr_count:     7
    .vgpr_spill_count: 0
    .wavefront_size: 32
    .workgroup_processor_mode: 1
  - .args:
      - .address_space:  global
        .offset:         0
        .size:           8
        .value_kind:     global_buffer
      - .address_space:  global
        .offset:         8
        .size:           8
        .value_kind:     global_buffer
    .group_segment_fixed_size: 648
    .kernarg_segment_align: 8
    .kernarg_segment_size: 16
    .language:       OpenCL C
    .language_version:
      - 2
      - 0
    .max_flat_workgroup_size: 162
    .name:           _Z17shuffle_up_kernelILj162ELj128EiEvPT1_S1_
    .private_segment_fixed_size: 0
    .sgpr_count:     7
    .sgpr_spill_count: 0
    .symbol:         _Z17shuffle_up_kernelILj162ELj128EiEvPT1_S1_.kd
    .uniform_work_group_size: 1
    .uses_dynamic_stack: false
    .vgpr_count:     7
    .vgpr_spill_count: 0
    .wavefront_size: 32
    .workgroup_processor_mode: 1
  - .args:
      - .address_space:  global
        .offset:         0
        .size:           8
        .value_kind:     global_buffer
      - .address_space:  global
        .offset:         8
        .size:           8
        .value_kind:     global_buffer
    .group_segment_fixed_size: 148
    .kernarg_segment_align: 8
    .kernarg_segment_size: 16
    .language:       OpenCL C
    .language_version:
      - 2
      - 0
    .max_flat_workgroup_size: 37
    .name:           _Z17shuffle_up_kernelILj37ELj128EiEvPT1_S1_
    .private_segment_fixed_size: 0
    .sgpr_count:     7
    .sgpr_spill_count: 0
    .symbol:         _Z17shuffle_up_kernelILj37ELj128EiEvPT1_S1_.kd
    .uniform_work_group_size: 1
    .uses_dynamic_stack: false
    .vgpr_count:     7
    .vgpr_spill_count: 0
    .wavefront_size: 32
    .workgroup_processor_mode: 1
  - .args:
      - .address_space:  global
        .offset:         0
        .size:           8
        .value_kind:     global_buffer
      - .address_space:  global
        .offset:         8
        .size:           8
        .value_kind:     global_buffer
    .group_segment_fixed_size: 260
    .kernarg_segment_align: 8
    .kernarg_segment_size: 16
    .language:       OpenCL C
    .language_version:
      - 2
      - 0
    .max_flat_workgroup_size: 65
    .name:           _Z17shuffle_up_kernelILj65ELj128EiEvPT1_S1_
    .private_segment_fixed_size: 0
    .sgpr_count:     7
    .sgpr_spill_count: 0
    .symbol:         _Z17shuffle_up_kernelILj65ELj128EiEvPT1_S1_.kd
    .uniform_work_group_size: 1
    .uses_dynamic_stack: false
    .vgpr_count:     7
    .vgpr_spill_count: 0
    .wavefront_size: 32
    .workgroup_processor_mode: 1
  - .args:
      - .address_space:  global
        .offset:         0
        .size:           8
        .value_kind:     global_buffer
      - .address_space:  global
        .offset:         8
        .size:           8
        .value_kind:     global_buffer
    .group_segment_fixed_size: 2048
    .kernarg_segment_align: 8
    .kernarg_segment_size: 16
    .language:       OpenCL C
    .language_version:
      - 2
      - 0
    .max_flat_workgroup_size: 512
    .name:           _Z17shuffle_up_kernelILj512ELj128EiEvPT1_S1_
    .private_segment_fixed_size: 0
    .sgpr_count:     6
    .sgpr_spill_count: 0
    .symbol:         _Z17shuffle_up_kernelILj512ELj128EiEvPT1_S1_.kd
    .uniform_work_group_size: 1
    .uses_dynamic_stack: false
    .vgpr_count:     7
    .vgpr_spill_count: 0
    .wavefront_size: 32
    .workgroup_processor_mode: 1
  - .args:
      - .address_space:  global
        .offset:         0
        .size:           8
        .value_kind:     global_buffer
      - .address_space:  global
        .offset:         8
        .size:           8
        .value_kind:     global_buffer
    .group_segment_fixed_size: 1024
    .kernarg_segment_align: 8
    .kernarg_segment_size: 16
    .language:       OpenCL C
    .language_version:
      - 2
      - 0
    .max_flat_workgroup_size: 256
    .name:           _Z17shuffle_up_kernelILj256ELj128EiEvPT1_S1_
    .private_segment_fixed_size: 0
    .sgpr_count:     6
    .sgpr_spill_count: 0
    .symbol:         _Z17shuffle_up_kernelILj256ELj128EiEvPT1_S1_.kd
    .uniform_work_group_size: 1
    .uses_dynamic_stack: false
    .vgpr_count:     7
    .vgpr_spill_count: 0
    .wavefront_size: 32
    .workgroup_processor_mode: 1
  - .args:
      - .address_space:  global
        .offset:         0
        .size:           8
        .value_kind:     global_buffer
      - .address_space:  global
        .offset:         8
        .size:           8
        .value_kind:     global_buffer
    .group_segment_fixed_size: 512
    .kernarg_segment_align: 8
    .kernarg_segment_size: 16
    .language:       OpenCL C
    .language_version:
      - 2
      - 0
    .max_flat_workgroup_size: 128
    .name:           _Z17shuffle_up_kernelILj128ELj128EiEvPT1_S1_
    .private_segment_fixed_size: 0
    .sgpr_count:     6
    .sgpr_spill_count: 0
    .symbol:         _Z17shuffle_up_kernelILj128ELj128EiEvPT1_S1_.kd
    .uniform_work_group_size: 1
    .uses_dynamic_stack: false
    .vgpr_count:     7
    .vgpr_spill_count: 0
    .wavefront_size: 32
    .workgroup_processor_mode: 1
  - .args:
      - .address_space:  global
        .offset:         0
        .size:           8
        .value_kind:     global_buffer
      - .address_space:  global
        .offset:         8
        .size:           8
        .value_kind:     global_buffer
    .group_segment_fixed_size: 256
    .kernarg_segment_align: 8
    .kernarg_segment_size: 16
    .language:       OpenCL C
    .language_version:
      - 2
      - 0
    .max_flat_workgroup_size: 64
    .name:           _Z17shuffle_up_kernelILj64ELj128EiEvPT1_S1_
    .private_segment_fixed_size: 0
    .sgpr_count:     6
    .sgpr_spill_count: 0
    .symbol:         _Z17shuffle_up_kernelILj64ELj128EiEvPT1_S1_.kd
    .uniform_work_group_size: 1
    .uses_dynamic_stack: false
    .vgpr_count:     7
    .vgpr_spill_count: 0
    .wavefront_size: 32
    .workgroup_processor_mode: 1
  - .args:
      - .address_space:  global
        .offset:         0
        .size:           8
        .value_kind:     global_buffer
      - .address_space:  global
        .offset:         8
        .size:           8
        .value_kind:     global_buffer
    .group_segment_fixed_size: 64
    .kernarg_segment_align: 8
    .kernarg_segment_size: 16
    .language:       OpenCL C
    .language_version:
      - 2
      - 0
    .max_flat_workgroup_size: 32
    .name:           _Z19shuffle_down_kernelILj32ELj128E12hip_bfloat16EvPT1_S2_
    .private_segment_fixed_size: 0
    .sgpr_count:     6
    .sgpr_spill_count: 0
    .symbol:         _Z19shuffle_down_kernelILj32ELj128E12hip_bfloat16EvPT1_S2_.kd
    .uniform_work_group_size: 1
    .uses_dynamic_stack: false
    .vgpr_count:     7
    .vgpr_spill_count: 0
    .wavefront_size: 32
    .workgroup_processor_mode: 1
  - .args:
      - .address_space:  global
        .offset:         0
        .size:           8
        .value_kind:     global_buffer
      - .address_space:  global
        .offset:         8
        .size:           8
        .value_kind:     global_buffer
    .group_segment_fixed_size: 64
    .kernarg_segment_align: 8
    .kernarg_segment_size: 16
    .language:       OpenCL C
    .language_version:
      - 2
      - 0
    .max_flat_workgroup_size: 32
    .name:           _Z19shuffle_down_kernelILj32ELj128E6__halfEvPT1_S2_
    .private_segment_fixed_size: 0
    .sgpr_count:     6
    .sgpr_spill_count: 0
    .symbol:         _Z19shuffle_down_kernelILj32ELj128E6__halfEvPT1_S2_.kd
    .uniform_work_group_size: 1
    .uses_dynamic_stack: false
    .vgpr_count:     7
    .vgpr_spill_count: 0
    .wavefront_size: 32
    .workgroup_processor_mode: 1
  - .args:
      - .address_space:  global
        .offset:         0
        .size:           8
        .value_kind:     global_buffer
      - .address_space:  global
        .offset:         8
        .size:           8
        .value_kind:     global_buffer
    .group_segment_fixed_size: 128
    .kernarg_segment_align: 8
    .kernarg_segment_size: 16
    .language:       OpenCL C
    .language_version:
      - 2
      - 0
    .max_flat_workgroup_size: 32
    .name:           _Z19shuffle_down_kernelILj32ELj128EfEvPT1_S1_
    .private_segment_fixed_size: 0
    .sgpr_count:     6
    .sgpr_spill_count: 0
    .symbol:         _Z19shuffle_down_kernelILj32ELj128EfEvPT1_S1_.kd
    .uniform_work_group_size: 1
    .uses_dynamic_stack: false
    .vgpr_count:     7
    .vgpr_spill_count: 0
    .wavefront_size: 32
    .workgroup_processor_mode: 1
  - .args:
      - .address_space:  global
        .offset:         0
        .size:           8
        .value_kind:     global_buffer
      - .address_space:  global
        .offset:         8
        .size:           8
        .value_kind:     global_buffer
    .group_segment_fixed_size: 3016
    .kernarg_segment_align: 8
    .kernarg_segment_size: 16
    .language:       OpenCL C
    .language_version:
      - 2
      - 0
    .max_flat_workgroup_size: 377
    .name:           _Z19shuffle_down_kernelILj377ELj128ElEvPT1_S1_
    .private_segment_fixed_size: 0
    .sgpr_count:     7
    .sgpr_spill_count: 0
    .symbol:         _Z19shuffle_down_kernelILj377ELj128ElEvPT1_S1_.kd
    .uniform_work_group_size: 1
    .uses_dynamic_stack: false
    .vgpr_count:     10
    .vgpr_spill_count: 0
    .wavefront_size: 32
    .workgroup_processor_mode: 1
  - .args:
      - .address_space:  global
        .offset:         0
        .size:           8
        .value_kind:     global_buffer
      - .address_space:  global
        .offset:         8
        .size:           8
        .value_kind:     global_buffer
    .group_segment_fixed_size: 2048
    .kernarg_segment_align: 8
    .kernarg_segment_size: 16
    .language:       OpenCL C
    .language_version:
      - 2
      - 0
    .max_flat_workgroup_size: 256
    .name:           _Z19shuffle_down_kernelILj256ELj128ElEvPT1_S1_
    .private_segment_fixed_size: 0
    .sgpr_count:     6
    .sgpr_spill_count: 0
    .symbol:         _Z19shuffle_down_kernelILj256ELj128ElEvPT1_S1_.kd
    .uniform_work_group_size: 1
    .uses_dynamic_stack: false
    .vgpr_count:     10
    .vgpr_spill_count: 0
    .wavefront_size: 32
    .workgroup_processor_mode: 1
  - .args:
      - .address_space:  global
        .offset:         0
        .size:           8
        .value_kind:     global_buffer
      - .address_space:  global
        .offset:         8
        .size:           8
        .value_kind:     global_buffer
    .group_segment_fixed_size: 512
    .kernarg_segment_align: 8
    .kernarg_segment_size: 16
    .language:       OpenCL C
    .language_version:
      - 2
      - 0
    .max_flat_workgroup_size: 64
    .name:           _Z19shuffle_down_kernelILj64ELj128ElEvPT1_S1_
    .private_segment_fixed_size: 0
    .sgpr_count:     6
    .sgpr_spill_count: 0
    .symbol:         _Z19shuffle_down_kernelILj64ELj128ElEvPT1_S1_.kd
    .uniform_work_group_size: 1
    .uses_dynamic_stack: false
    .vgpr_count:     10
    .vgpr_spill_count: 0
    .wavefront_size: 32
    .workgroup_processor_mode: 1
  - .args:
      - .address_space:  global
        .offset:         0
        .size:           8
        .value_kind:     global_buffer
      - .address_space:  global
        .offset:         8
        .size:           8
        .value_kind:     global_buffer
    .group_segment_fixed_size: 1508
    .kernarg_segment_align: 8
    .kernarg_segment_size: 16
    .language:       OpenCL C
    .language_version:
      - 2
      - 0
    .max_flat_workgroup_size: 377
    .name:           _Z19shuffle_down_kernelILj377ELj128EjEvPT1_S1_
    .private_segment_fixed_size: 0
    .sgpr_count:     7
    .sgpr_spill_count: 0
    .symbol:         _Z19shuffle_down_kernelILj377ELj128EjEvPT1_S1_.kd
    .uniform_work_group_size: 1
    .uses_dynamic_stack: false
    .vgpr_count:     7
    .vgpr_spill_count: 0
    .wavefront_size: 32
    .workgroup_processor_mode: 1
  - .args:
      - .address_space:  global
        .offset:         0
        .size:           8
        .value_kind:     global_buffer
      - .address_space:  global
        .offset:         8
        .size:           8
        .value_kind:     global_buffer
    .group_segment_fixed_size: 1024
    .kernarg_segment_align: 8
    .kernarg_segment_size: 16
    .language:       OpenCL C
    .language_version:
      - 2
      - 0
    .max_flat_workgroup_size: 256
    .name:           _Z19shuffle_down_kernelILj256ELj128EjEvPT1_S1_
    .private_segment_fixed_size: 0
    .sgpr_count:     6
    .sgpr_spill_count: 0
    .symbol:         _Z19shuffle_down_kernelILj256ELj128EjEvPT1_S1_.kd
    .uniform_work_group_size: 1
    .uses_dynamic_stack: false
    .vgpr_count:     7
    .vgpr_spill_count: 0
    .wavefront_size: 32
    .workgroup_processor_mode: 1
  - .args:
      - .address_space:  global
        .offset:         0
        .size:           8
        .value_kind:     global_buffer
      - .address_space:  global
        .offset:         8
        .size:           8
        .value_kind:     global_buffer
    .group_segment_fixed_size: 256
    .kernarg_segment_align: 8
    .kernarg_segment_size: 16
    .language:       OpenCL C
    .language_version:
      - 2
      - 0
    .max_flat_workgroup_size: 64
    .name:           _Z19shuffle_down_kernelILj64ELj128EjEvPT1_S1_
    .private_segment_fixed_size: 0
    .sgpr_count:     6
    .sgpr_spill_count: 0
    .symbol:         _Z19shuffle_down_kernelILj64ELj128EjEvPT1_S1_.kd
    .uniform_work_group_size: 1
    .uses_dynamic_stack: false
    .vgpr_count:     7
    .vgpr_spill_count: 0
    .wavefront_size: 32
    .workgroup_processor_mode: 1
  - .args:
      - .address_space:  global
        .offset:         0
        .size:           8
        .value_kind:     global_buffer
      - .address_space:  global
        .offset:         8
        .size:           8
        .value_kind:     global_buffer
    .group_segment_fixed_size: 1020
    .kernarg_segment_align: 8
    .kernarg_segment_size: 16
    .language:       OpenCL C
    .language_version:
      - 2
      - 0
    .max_flat_workgroup_size: 255
    .name:           _Z19shuffle_down_kernelILj255ELj128EiEvPT1_S1_
    .private_segment_fixed_size: 0
    .sgpr_count:     7
    .sgpr_spill_count: 0
    .symbol:         _Z19shuffle_down_kernelILj255ELj128EiEvPT1_S1_.kd
    .uniform_work_group_size: 1
    .uses_dynamic_stack: false
    .vgpr_count:     7
    .vgpr_spill_count: 0
    .wavefront_size: 32
    .workgroup_processor_mode: 1
  - .args:
      - .address_space:  global
        .offset:         0
        .size:           8
        .value_kind:     global_buffer
      - .address_space:  global
        .offset:         8
        .size:           8
        .value_kind:     global_buffer
    .group_segment_fixed_size: 648
    .kernarg_segment_align: 8
    .kernarg_segment_size: 16
    .language:       OpenCL C
    .language_version:
      - 2
      - 0
    .max_flat_workgroup_size: 162
    .name:           _Z19shuffle_down_kernelILj162ELj128EiEvPT1_S1_
    .private_segment_fixed_size: 0
    .sgpr_count:     7
    .sgpr_spill_count: 0
    .symbol:         _Z19shuffle_down_kernelILj162ELj128EiEvPT1_S1_.kd
    .uniform_work_group_size: 1
    .uses_dynamic_stack: false
    .vgpr_count:     7
    .vgpr_spill_count: 0
    .wavefront_size: 32
    .workgroup_processor_mode: 1
  - .args:
      - .address_space:  global
        .offset:         0
        .size:           8
        .value_kind:     global_buffer
      - .address_space:  global
        .offset:         8
        .size:           8
        .value_kind:     global_buffer
    .group_segment_fixed_size: 148
    .kernarg_segment_align: 8
    .kernarg_segment_size: 16
    .language:       OpenCL C
    .language_version:
      - 2
      - 0
    .max_flat_workgroup_size: 37
    .name:           _Z19shuffle_down_kernelILj37ELj128EiEvPT1_S1_
    .private_segment_fixed_size: 0
    .sgpr_count:     7
    .sgpr_spill_count: 0
    .symbol:         _Z19shuffle_down_kernelILj37ELj128EiEvPT1_S1_.kd
    .uniform_work_group_size: 1
    .uses_dynamic_stack: false
    .vgpr_count:     7
    .vgpr_spill_count: 0
    .wavefront_size: 32
    .workgroup_processor_mode: 1
  - .args:
      - .address_space:  global
        .offset:         0
        .size:           8
        .value_kind:     global_buffer
      - .address_space:  global
        .offset:         8
        .size:           8
        .value_kind:     global_buffer
    .group_segment_fixed_size: 260
    .kernarg_segment_align: 8
    .kernarg_segment_size: 16
    .language:       OpenCL C
    .language_version:
      - 2
      - 0
    .max_flat_workgroup_size: 65
    .name:           _Z19shuffle_down_kernelILj65ELj128EiEvPT1_S1_
    .private_segment_fixed_size: 0
    .sgpr_count:     7
    .sgpr_spill_count: 0
    .symbol:         _Z19shuffle_down_kernelILj65ELj128EiEvPT1_S1_.kd
    .uniform_work_group_size: 1
    .uses_dynamic_stack: false
    .vgpr_count:     7
    .vgpr_spill_count: 0
    .wavefront_size: 32
    .workgroup_processor_mode: 1
  - .args:
      - .address_space:  global
        .offset:         0
        .size:           8
        .value_kind:     global_buffer
      - .address_space:  global
        .offset:         8
        .size:           8
        .value_kind:     global_buffer
    .group_segment_fixed_size: 2048
    .kernarg_segment_align: 8
    .kernarg_segment_size: 16
    .language:       OpenCL C
    .language_version:
      - 2
      - 0
    .max_flat_workgroup_size: 512
    .name:           _Z19shuffle_down_kernelILj512ELj128EiEvPT1_S1_
    .private_segment_fixed_size: 0
    .sgpr_count:     6
    .sgpr_spill_count: 0
    .symbol:         _Z19shuffle_down_kernelILj512ELj128EiEvPT1_S1_.kd
    .uniform_work_group_size: 1
    .uses_dynamic_stack: false
    .vgpr_count:     7
    .vgpr_spill_count: 0
    .wavefront_size: 32
    .workgroup_processor_mode: 1
  - .args:
      - .address_space:  global
        .offset:         0
        .size:           8
        .value_kind:     global_buffer
      - .address_space:  global
        .offset:         8
        .size:           8
        .value_kind:     global_buffer
    .group_segment_fixed_size: 1024
    .kernarg_segment_align: 8
    .kernarg_segment_size: 16
    .language:       OpenCL C
    .language_version:
      - 2
      - 0
    .max_flat_workgroup_size: 256
    .name:           _Z19shuffle_down_kernelILj256ELj128EiEvPT1_S1_
    .private_segment_fixed_size: 0
    .sgpr_count:     6
    .sgpr_spill_count: 0
    .symbol:         _Z19shuffle_down_kernelILj256ELj128EiEvPT1_S1_.kd
    .uniform_work_group_size: 1
    .uses_dynamic_stack: false
    .vgpr_count:     7
    .vgpr_spill_count: 0
    .wavefront_size: 32
    .workgroup_processor_mode: 1
  - .args:
      - .address_space:  global
        .offset:         0
        .size:           8
        .value_kind:     global_buffer
      - .address_space:  global
        .offset:         8
        .size:           8
        .value_kind:     global_buffer
    .group_segment_fixed_size: 512
    .kernarg_segment_align: 8
    .kernarg_segment_size: 16
    .language:       OpenCL C
    .language_version:
      - 2
      - 0
    .max_flat_workgroup_size: 128
    .name:           _Z19shuffle_down_kernelILj128ELj128EiEvPT1_S1_
    .private_segment_fixed_size: 0
    .sgpr_count:     6
    .sgpr_spill_count: 0
    .symbol:         _Z19shuffle_down_kernelILj128ELj128EiEvPT1_S1_.kd
    .uniform_work_group_size: 1
    .uses_dynamic_stack: false
    .vgpr_count:     7
    .vgpr_spill_count: 0
    .wavefront_size: 32
    .workgroup_processor_mode: 1
  - .args:
      - .address_space:  global
        .offset:         0
        .size:           8
        .value_kind:     global_buffer
      - .address_space:  global
        .offset:         8
        .size:           8
        .value_kind:     global_buffer
    .group_segment_fixed_size: 256
    .kernarg_segment_align: 8
    .kernarg_segment_size: 16
    .language:       OpenCL C
    .language_version:
      - 2
      - 0
    .max_flat_workgroup_size: 64
    .name:           _Z19shuffle_down_kernelILj64ELj128EiEvPT1_S1_
    .private_segment_fixed_size: 0
    .sgpr_count:     6
    .sgpr_spill_count: 0
    .symbol:         _Z19shuffle_down_kernelILj64ELj128EiEvPT1_S1_.kd
    .uniform_work_group_size: 1
    .uses_dynamic_stack: false
    .vgpr_count:     7
    .vgpr_spill_count: 0
    .wavefront_size: 32
    .workgroup_processor_mode: 1
amdhsa.target:   amdgcn-amd-amdhsa--gfx1201
amdhsa.version:
  - 1
  - 2
...

	.end_amdgpu_metadata
